;; amdgpu-corpus repo=ROCm/rocSPARSE kind=compiled arch=gfx90a opt=O3
	.text
	.amdgcn_target "amdgcn-amd-amdhsa--gfx90a"
	.amdhsa_code_object_version 6
	.section	.text._ZN9rocsparseL19nnz_compress_kernelILi1024ELi512ELi2EfEEvi21rocsparse_index_base_PKT2_PKiPiS2_,"axG",@progbits,_ZN9rocsparseL19nnz_compress_kernelILi1024ELi512ELi2EfEEvi21rocsparse_index_base_PKT2_PKiPiS2_,comdat
	.globl	_ZN9rocsparseL19nnz_compress_kernelILi1024ELi512ELi2EfEEvi21rocsparse_index_base_PKT2_PKiPiS2_ ; -- Begin function _ZN9rocsparseL19nnz_compress_kernelILi1024ELi512ELi2EfEEvi21rocsparse_index_base_PKT2_PKiPiS2_
	.p2align	8
	.type	_ZN9rocsparseL19nnz_compress_kernelILi1024ELi512ELi2EfEEvi21rocsparse_index_base_PKT2_PKiPiS2_,@function
_ZN9rocsparseL19nnz_compress_kernelILi1024ELi512ELi2EfEEvi21rocsparse_index_base_PKT2_PKiPiS2_: ; @_ZN9rocsparseL19nnz_compress_kernelILi1024ELi512ELi2EfEEvi21rocsparse_index_base_PKT2_PKiPiS2_
; %bb.0:
	s_load_dwordx2 s[0:1], s[4:5], 0x0
	v_lshrrev_b32_e32 v1, 1, v0
	v_lshl_or_b32 v2, s6, 9, v1
	s_waitcnt lgkmcnt(0)
	v_cmp_gt_i32_e32 vcc, s0, v2
	s_and_saveexec_b64 s[2:3], vcc
	s_cbranch_execz .LBB0_12
; %bb.1:
	s_load_dwordx4 s[8:11], s[4:5], 0x10
	v_ashrrev_i32_e32 v3, 31, v2
	v_lshlrev_b64 v[2:3], 2, v[2:3]
	v_mov_b32_e32 v7, 0
	s_waitcnt lgkmcnt(0)
	v_mov_b32_e32 v1, s9
	v_add_co_u32_e32 v4, vcc, s8, v2
	v_addc_co_u32_e32 v5, vcc, v1, v3, vcc
	global_load_dwordx2 v[4:5], v[4:5], off
	v_and_b32_e32 v1, 1, v0
	v_subrev_u32_e32 v0, s1, v1
	s_waitcnt vmcnt(0)
	v_subrev_u32_e32 v6, s1, v5
	v_add_u32_e32 v0, v4, v0
	v_cmp_lt_i32_e32 vcc, v0, v6
	s_and_saveexec_b64 s[8:9], vcc
	s_cbranch_execz .LBB0_11
; %bb.2:
	v_add_u32_e32 v5, v4, v1
	v_subrev_u32_e32 v5, s1, v5
	s_load_dwordx2 s[12:13], s[4:5], 0x8
	s_load_dword s18, s[4:5], 0x20
	v_add_u32_e32 v5, 2, v5
	v_max_i32_e32 v5, v5, v6
	v_not_b32_e32 v4, v4
	v_add3_u32 v4, v5, s1, v4
	v_sub_u32_e32 v1, v4, v1
	v_cmp_lt_u32_e32 vcc, 1, v1
	s_mov_b64 s[0:1], -1
	v_mov_b32_e32 v7, 0
	s_and_saveexec_b64 s[14:15], vcc
	s_cbranch_execz .LBB0_6
; %bb.3:
	v_lshrrev_b32_e32 v1, 1, v1
	v_add_u32_e32 v8, 1, v1
	v_and_b32_e32 v9, -2, v8
	v_add_u32_e32 v1, 2, v0
	s_waitcnt lgkmcnt(0)
	s_mov_b32 s19, s18
	s_mov_b64 s[16:17], 0
	v_mov_b32_e32 v7, 0
	v_mov_b32_e32 v10, s13
	s_mov_b32 s20, 0x800000
	v_mov_b32_e32 v11, v9
	v_pk_mov_b32 v[4:5], v[0:1], v[0:1] op_sel:[0,1]
	v_mov_b32_e32 v1, 0
.LBB0_4:                                ; =>This Inner Loop Header: Depth=1
	v_ashrrev_i32_e32 v15, 31, v4
	v_mov_b32_e32 v14, v4
	v_lshlrev_b64 v[14:15], 2, v[14:15]
	v_ashrrev_i32_e32 v13, 31, v5
	v_mov_b32_e32 v12, v5
	v_add_co_u32_e32 v14, vcc, s12, v14
	v_lshlrev_b64 v[12:13], 2, v[12:13]
	v_addc_co_u32_e32 v15, vcc, v10, v15, vcc
	v_add_co_u32_e32 v12, vcc, s12, v12
	v_addc_co_u32_e32 v13, vcc, v10, v13, vcc
	global_load_dword v16, v[14:15], off
	global_load_dword v17, v[12:13], off
	v_add_u32_e32 v11, -2, v11
	v_cmp_eq_u32_e32 vcc, 0, v11
	v_add_u32_e32 v5, 4, v5
	v_add_u32_e32 v4, 4, v4
	s_waitcnt vmcnt(1)
	v_cmp_gt_f32_e64 s[0:1], 0, v16
	v_cndmask_b32_e64 v12, v16, -v16, s[0:1]
	s_waitcnt vmcnt(0)
	v_cmp_gt_f32_e64 s[0:1], 0, v17
	v_cndmask_b32_e64 v13, v17, -v17, s[0:1]
	v_cmp_lt_f32_e64 s[0:1], s19, v13
	v_cmp_lt_f32_e64 s[4:5], s20, v13
	s_and_b64 s[0:1], s[0:1], s[4:5]
	v_cmp_lt_f32_e64 s[2:3], s18, v12
	v_cmp_lt_f32_e64 s[6:7], s20, v12
	v_addc_co_u32_e64 v1, s[0:1], 0, v1, s[0:1]
	s_and_b64 s[0:1], s[2:3], s[6:7]
	s_or_b64 s[16:17], vcc, s[16:17]
	v_addc_co_u32_e64 v7, vcc, 0, v7, s[0:1]
	s_andn2_b64 exec, exec, s[16:17]
	s_cbranch_execnz .LBB0_4
; %bb.5:
	s_or_b64 exec, exec, s[16:17]
	v_cmp_ne_u32_e32 vcc, v8, v9
	v_lshl_add_u32 v0, v9, 1, v0
	v_add_u32_e32 v7, v7, v1
	s_orn2_b64 s[0:1], vcc, exec
.LBB0_6:
	s_or_b64 exec, exec, s[14:15]
	s_and_saveexec_b64 s[4:5], s[0:1]
	s_cbranch_execz .LBB0_10
; %bb.7:
	v_ashrrev_i32_e32 v1, 31, v0
	v_lshlrev_b64 v[4:5], 2, v[0:1]
	s_waitcnt lgkmcnt(0)
	v_mov_b32_e32 v1, s13
	v_add_co_u32_e32 v4, vcc, s12, v4
	v_addc_co_u32_e32 v5, vcc, v1, v5, vcc
	s_mov_b64 s[6:7], 0
	s_mov_b32 s12, 0x800000
.LBB0_8:                                ; =>This Inner Loop Header: Depth=1
	global_load_dword v1, v[4:5], off
	v_add_co_u32_e32 v4, vcc, 8, v4
	v_add_u32_e32 v0, 2, v0
	v_addc_co_u32_e32 v5, vcc, 0, v5, vcc
	v_cmp_ge_i32_e32 vcc, v0, v6
	s_waitcnt vmcnt(0)
	v_cmp_gt_f32_e64 s[0:1], 0, v1
	v_cndmask_b32_e64 v1, v1, -v1, s[0:1]
	v_cmp_lt_f32_e64 s[0:1], s18, v1
	v_cmp_lt_f32_e64 s[2:3], s12, v1
	s_and_b64 s[0:1], s[0:1], s[2:3]
	s_or_b64 s[6:7], vcc, s[6:7]
	v_addc_co_u32_e64 v7, vcc, 0, v7, s[0:1]
	s_andn2_b64 exec, exec, s[6:7]
	s_cbranch_execnz .LBB0_8
; %bb.9:
	s_or_b64 exec, exec, s[6:7]
.LBB0_10:
	s_or_b64 exec, exec, s[4:5]
.LBB0_11:
	s_or_b64 exec, exec, s[8:9]
	v_mbcnt_lo_u32_b32 v1, -1, 0
	v_mov_b32_dpp v0, v7 row_shr:1 row_mask:0xf bank_mask:0xf
	v_mbcnt_hi_u32_b32 v1, -1, v1
	v_add_u32_e32 v0, v0, v7
	v_lshl_or_b32 v1, v1, 2, 4
	ds_bpermute_b32 v4, v1, v0
	v_mov_b32_e32 v1, s11
	v_add_co_u32_e32 v0, vcc, s10, v2
	v_addc_co_u32_e32 v1, vcc, v1, v3, vcc
	s_waitcnt lgkmcnt(0)
	global_store_dword v[0:1], v4, off
.LBB0_12:
	s_endpgm
	.section	.rodata,"a",@progbits
	.p2align	6, 0x0
	.amdhsa_kernel _ZN9rocsparseL19nnz_compress_kernelILi1024ELi512ELi2EfEEvi21rocsparse_index_base_PKT2_PKiPiS2_
		.amdhsa_group_segment_fixed_size 0
		.amdhsa_private_segment_fixed_size 0
		.amdhsa_kernarg_size 36
		.amdhsa_user_sgpr_count 6
		.amdhsa_user_sgpr_private_segment_buffer 1
		.amdhsa_user_sgpr_dispatch_ptr 0
		.amdhsa_user_sgpr_queue_ptr 0
		.amdhsa_user_sgpr_kernarg_segment_ptr 1
		.amdhsa_user_sgpr_dispatch_id 0
		.amdhsa_user_sgpr_flat_scratch_init 0
		.amdhsa_user_sgpr_kernarg_preload_length 0
		.amdhsa_user_sgpr_kernarg_preload_offset 0
		.amdhsa_user_sgpr_private_segment_size 0
		.amdhsa_uses_dynamic_stack 0
		.amdhsa_system_sgpr_private_segment_wavefront_offset 0
		.amdhsa_system_sgpr_workgroup_id_x 1
		.amdhsa_system_sgpr_workgroup_id_y 0
		.amdhsa_system_sgpr_workgroup_id_z 0
		.amdhsa_system_sgpr_workgroup_info 0
		.amdhsa_system_vgpr_workitem_id 0
		.amdhsa_next_free_vgpr 18
		.amdhsa_next_free_sgpr 21
		.amdhsa_accum_offset 20
		.amdhsa_reserve_vcc 1
		.amdhsa_reserve_flat_scratch 0
		.amdhsa_float_round_mode_32 0
		.amdhsa_float_round_mode_16_64 0
		.amdhsa_float_denorm_mode_32 3
		.amdhsa_float_denorm_mode_16_64 3
		.amdhsa_dx10_clamp 1
		.amdhsa_ieee_mode 1
		.amdhsa_fp16_overflow 0
		.amdhsa_tg_split 0
		.amdhsa_exception_fp_ieee_invalid_op 0
		.amdhsa_exception_fp_denorm_src 0
		.amdhsa_exception_fp_ieee_div_zero 0
		.amdhsa_exception_fp_ieee_overflow 0
		.amdhsa_exception_fp_ieee_underflow 0
		.amdhsa_exception_fp_ieee_inexact 0
		.amdhsa_exception_int_div_zero 0
	.end_amdhsa_kernel
	.section	.text._ZN9rocsparseL19nnz_compress_kernelILi1024ELi512ELi2EfEEvi21rocsparse_index_base_PKT2_PKiPiS2_,"axG",@progbits,_ZN9rocsparseL19nnz_compress_kernelILi1024ELi512ELi2EfEEvi21rocsparse_index_base_PKT2_PKiPiS2_,comdat
.Lfunc_end0:
	.size	_ZN9rocsparseL19nnz_compress_kernelILi1024ELi512ELi2EfEEvi21rocsparse_index_base_PKT2_PKiPiS2_, .Lfunc_end0-_ZN9rocsparseL19nnz_compress_kernelILi1024ELi512ELi2EfEEvi21rocsparse_index_base_PKT2_PKiPiS2_
                                        ; -- End function
	.section	.AMDGPU.csdata,"",@progbits
; Kernel info:
; codeLenInByte = 676
; NumSgprs: 25
; NumVgprs: 18
; NumAgprs: 0
; TotalNumVgprs: 18
; ScratchSize: 0
; MemoryBound: 0
; FloatMode: 240
; IeeeMode: 1
; LDSByteSize: 0 bytes/workgroup (compile time only)
; SGPRBlocks: 3
; VGPRBlocks: 2
; NumSGPRsForWavesPerEU: 25
; NumVGPRsForWavesPerEU: 18
; AccumOffset: 20
; Occupancy: 8
; WaveLimiterHint : 0
; COMPUTE_PGM_RSRC2:SCRATCH_EN: 0
; COMPUTE_PGM_RSRC2:USER_SGPR: 6
; COMPUTE_PGM_RSRC2:TRAP_HANDLER: 0
; COMPUTE_PGM_RSRC2:TGID_X_EN: 1
; COMPUTE_PGM_RSRC2:TGID_Y_EN: 0
; COMPUTE_PGM_RSRC2:TGID_Z_EN: 0
; COMPUTE_PGM_RSRC2:TIDIG_COMP_CNT: 0
; COMPUTE_PGM_RSRC3_GFX90A:ACCUM_OFFSET: 4
; COMPUTE_PGM_RSRC3_GFX90A:TG_SPLIT: 0
	.section	.text._ZN9rocsparseL19nnz_compress_kernelILi1024ELi256ELi4EfEEvi21rocsparse_index_base_PKT2_PKiPiS2_,"axG",@progbits,_ZN9rocsparseL19nnz_compress_kernelILi1024ELi256ELi4EfEEvi21rocsparse_index_base_PKT2_PKiPiS2_,comdat
	.globl	_ZN9rocsparseL19nnz_compress_kernelILi1024ELi256ELi4EfEEvi21rocsparse_index_base_PKT2_PKiPiS2_ ; -- Begin function _ZN9rocsparseL19nnz_compress_kernelILi1024ELi256ELi4EfEEvi21rocsparse_index_base_PKT2_PKiPiS2_
	.p2align	8
	.type	_ZN9rocsparseL19nnz_compress_kernelILi1024ELi256ELi4EfEEvi21rocsparse_index_base_PKT2_PKiPiS2_,@function
_ZN9rocsparseL19nnz_compress_kernelILi1024ELi256ELi4EfEEvi21rocsparse_index_base_PKT2_PKiPiS2_: ; @_ZN9rocsparseL19nnz_compress_kernelILi1024ELi256ELi4EfEEvi21rocsparse_index_base_PKT2_PKiPiS2_
; %bb.0:
	s_load_dwordx2 s[0:1], s[4:5], 0x0
	v_lshrrev_b32_e32 v1, 2, v0
	v_lshl_or_b32 v2, s6, 8, v1
	s_waitcnt lgkmcnt(0)
	v_cmp_gt_i32_e32 vcc, s0, v2
	s_and_saveexec_b64 s[2:3], vcc
	s_cbranch_execz .LBB1_12
; %bb.1:
	s_load_dwordx4 s[8:11], s[4:5], 0x10
	v_ashrrev_i32_e32 v3, 31, v2
	v_lshlrev_b64 v[2:3], 2, v[2:3]
	v_mov_b32_e32 v7, 0
	s_waitcnt lgkmcnt(0)
	v_mov_b32_e32 v1, s9
	v_add_co_u32_e32 v4, vcc, s8, v2
	v_addc_co_u32_e32 v5, vcc, v1, v3, vcc
	global_load_dwordx2 v[4:5], v[4:5], off
	v_and_b32_e32 v1, 3, v0
	v_subrev_u32_e32 v0, s1, v1
	s_waitcnt vmcnt(0)
	v_subrev_u32_e32 v6, s1, v5
	v_add_u32_e32 v0, v4, v0
	v_cmp_lt_i32_e32 vcc, v0, v6
	s_and_saveexec_b64 s[8:9], vcc
	s_cbranch_execz .LBB1_11
; %bb.2:
	v_add_u32_e32 v5, v4, v1
	v_subrev_u32_e32 v5, s1, v5
	s_load_dwordx2 s[12:13], s[4:5], 0x8
	s_load_dword s18, s[4:5], 0x20
	v_add_u32_e32 v5, 4, v5
	v_max_i32_e32 v5, v5, v6
	v_not_b32_e32 v4, v4
	v_add3_u32 v4, v5, s1, v4
	v_sub_u32_e32 v1, v4, v1
	v_cmp_lt_u32_e32 vcc, 3, v1
	s_mov_b64 s[0:1], -1
	v_mov_b32_e32 v7, 0
	s_and_saveexec_b64 s[14:15], vcc
	s_cbranch_execz .LBB1_6
; %bb.3:
	v_lshrrev_b32_e32 v1, 2, v1
	v_add_u32_e32 v8, 1, v1
	v_and_b32_e32 v9, 0x7ffffffe, v8
	v_add_u32_e32 v1, 4, v0
	s_waitcnt lgkmcnt(0)
	s_mov_b32 s19, s18
	s_mov_b64 s[16:17], 0
	v_mov_b32_e32 v7, 0
	v_mov_b32_e32 v10, s13
	s_mov_b32 s20, 0x800000
	v_mov_b32_e32 v11, v9
	v_pk_mov_b32 v[4:5], v[0:1], v[0:1] op_sel:[0,1]
	v_mov_b32_e32 v1, 0
.LBB1_4:                                ; =>This Inner Loop Header: Depth=1
	v_ashrrev_i32_e32 v15, 31, v4
	v_mov_b32_e32 v14, v4
	v_lshlrev_b64 v[14:15], 2, v[14:15]
	v_ashrrev_i32_e32 v13, 31, v5
	v_mov_b32_e32 v12, v5
	v_add_co_u32_e32 v14, vcc, s12, v14
	v_lshlrev_b64 v[12:13], 2, v[12:13]
	v_addc_co_u32_e32 v15, vcc, v10, v15, vcc
	v_add_co_u32_e32 v12, vcc, s12, v12
	v_addc_co_u32_e32 v13, vcc, v10, v13, vcc
	global_load_dword v16, v[14:15], off
	global_load_dword v17, v[12:13], off
	v_add_u32_e32 v11, -2, v11
	v_cmp_eq_u32_e32 vcc, 0, v11
	v_add_u32_e32 v5, 8, v5
	v_add_u32_e32 v4, 8, v4
	s_waitcnt vmcnt(1)
	v_cmp_gt_f32_e64 s[0:1], 0, v16
	v_cndmask_b32_e64 v12, v16, -v16, s[0:1]
	s_waitcnt vmcnt(0)
	v_cmp_gt_f32_e64 s[0:1], 0, v17
	v_cndmask_b32_e64 v13, v17, -v17, s[0:1]
	v_cmp_lt_f32_e64 s[0:1], s19, v13
	v_cmp_lt_f32_e64 s[4:5], s20, v13
	s_and_b64 s[0:1], s[0:1], s[4:5]
	v_cmp_lt_f32_e64 s[2:3], s18, v12
	v_cmp_lt_f32_e64 s[6:7], s20, v12
	v_addc_co_u32_e64 v1, s[0:1], 0, v1, s[0:1]
	s_and_b64 s[0:1], s[2:3], s[6:7]
	s_or_b64 s[16:17], vcc, s[16:17]
	v_addc_co_u32_e64 v7, vcc, 0, v7, s[0:1]
	s_andn2_b64 exec, exec, s[16:17]
	s_cbranch_execnz .LBB1_4
; %bb.5:
	s_or_b64 exec, exec, s[16:17]
	v_cmp_ne_u32_e32 vcc, v8, v9
	v_lshl_add_u32 v0, v9, 2, v0
	v_add_u32_e32 v7, v7, v1
	s_orn2_b64 s[0:1], vcc, exec
.LBB1_6:
	s_or_b64 exec, exec, s[14:15]
	s_and_saveexec_b64 s[4:5], s[0:1]
	s_cbranch_execz .LBB1_10
; %bb.7:
	v_ashrrev_i32_e32 v1, 31, v0
	v_lshlrev_b64 v[4:5], 2, v[0:1]
	s_waitcnt lgkmcnt(0)
	v_mov_b32_e32 v1, s13
	v_add_co_u32_e32 v4, vcc, s12, v4
	v_addc_co_u32_e32 v5, vcc, v1, v5, vcc
	s_mov_b64 s[6:7], 0
	s_mov_b32 s12, 0x800000
.LBB1_8:                                ; =>This Inner Loop Header: Depth=1
	global_load_dword v1, v[4:5], off
	v_add_co_u32_e32 v4, vcc, 16, v4
	v_add_u32_e32 v0, 4, v0
	v_addc_co_u32_e32 v5, vcc, 0, v5, vcc
	v_cmp_ge_i32_e32 vcc, v0, v6
	s_waitcnt vmcnt(0)
	v_cmp_gt_f32_e64 s[0:1], 0, v1
	v_cndmask_b32_e64 v1, v1, -v1, s[0:1]
	v_cmp_lt_f32_e64 s[0:1], s18, v1
	v_cmp_lt_f32_e64 s[2:3], s12, v1
	s_and_b64 s[0:1], s[0:1], s[2:3]
	s_or_b64 s[6:7], vcc, s[6:7]
	v_addc_co_u32_e64 v7, vcc, 0, v7, s[0:1]
	s_andn2_b64 exec, exec, s[6:7]
	s_cbranch_execnz .LBB1_8
; %bb.9:
	s_or_b64 exec, exec, s[6:7]
.LBB1_10:
	s_or_b64 exec, exec, s[4:5]
.LBB1_11:
	s_or_b64 exec, exec, s[8:9]
	v_mov_b32_dpp v0, v7 row_shr:1 row_mask:0xf bank_mask:0xf
	v_add_u32_e32 v0, v0, v7
	s_nop 1
	v_mov_b32_dpp v1, v0 row_shr:2 row_mask:0xf bank_mask:0xf
	v_add_u32_e32 v0, v0, v1
	v_mbcnt_lo_u32_b32 v1, -1, 0
	v_mbcnt_hi_u32_b32 v1, -1, v1
	v_lshl_or_b32 v1, v1, 2, 12
	ds_bpermute_b32 v4, v1, v0
	v_mov_b32_e32 v1, s11
	v_add_co_u32_e32 v0, vcc, s10, v2
	v_addc_co_u32_e32 v1, vcc, v1, v3, vcc
	s_waitcnt lgkmcnt(0)
	global_store_dword v[0:1], v4, off
.LBB1_12:
	s_endpgm
	.section	.rodata,"a",@progbits
	.p2align	6, 0x0
	.amdhsa_kernel _ZN9rocsparseL19nnz_compress_kernelILi1024ELi256ELi4EfEEvi21rocsparse_index_base_PKT2_PKiPiS2_
		.amdhsa_group_segment_fixed_size 0
		.amdhsa_private_segment_fixed_size 0
		.amdhsa_kernarg_size 36
		.amdhsa_user_sgpr_count 6
		.amdhsa_user_sgpr_private_segment_buffer 1
		.amdhsa_user_sgpr_dispatch_ptr 0
		.amdhsa_user_sgpr_queue_ptr 0
		.amdhsa_user_sgpr_kernarg_segment_ptr 1
		.amdhsa_user_sgpr_dispatch_id 0
		.amdhsa_user_sgpr_flat_scratch_init 0
		.amdhsa_user_sgpr_kernarg_preload_length 0
		.amdhsa_user_sgpr_kernarg_preload_offset 0
		.amdhsa_user_sgpr_private_segment_size 0
		.amdhsa_uses_dynamic_stack 0
		.amdhsa_system_sgpr_private_segment_wavefront_offset 0
		.amdhsa_system_sgpr_workgroup_id_x 1
		.amdhsa_system_sgpr_workgroup_id_y 0
		.amdhsa_system_sgpr_workgroup_id_z 0
		.amdhsa_system_sgpr_workgroup_info 0
		.amdhsa_system_vgpr_workitem_id 0
		.amdhsa_next_free_vgpr 18
		.amdhsa_next_free_sgpr 21
		.amdhsa_accum_offset 20
		.amdhsa_reserve_vcc 1
		.amdhsa_reserve_flat_scratch 0
		.amdhsa_float_round_mode_32 0
		.amdhsa_float_round_mode_16_64 0
		.amdhsa_float_denorm_mode_32 3
		.amdhsa_float_denorm_mode_16_64 3
		.amdhsa_dx10_clamp 1
		.amdhsa_ieee_mode 1
		.amdhsa_fp16_overflow 0
		.amdhsa_tg_split 0
		.amdhsa_exception_fp_ieee_invalid_op 0
		.amdhsa_exception_fp_denorm_src 0
		.amdhsa_exception_fp_ieee_div_zero 0
		.amdhsa_exception_fp_ieee_overflow 0
		.amdhsa_exception_fp_ieee_underflow 0
		.amdhsa_exception_fp_ieee_inexact 0
		.amdhsa_exception_int_div_zero 0
	.end_amdhsa_kernel
	.section	.text._ZN9rocsparseL19nnz_compress_kernelILi1024ELi256ELi4EfEEvi21rocsparse_index_base_PKT2_PKiPiS2_,"axG",@progbits,_ZN9rocsparseL19nnz_compress_kernelILi1024ELi256ELi4EfEEvi21rocsparse_index_base_PKT2_PKiPiS2_,comdat
.Lfunc_end1:
	.size	_ZN9rocsparseL19nnz_compress_kernelILi1024ELi256ELi4EfEEvi21rocsparse_index_base_PKT2_PKiPiS2_, .Lfunc_end1-_ZN9rocsparseL19nnz_compress_kernelILi1024ELi256ELi4EfEEvi21rocsparse_index_base_PKT2_PKiPiS2_
                                        ; -- End function
	.section	.AMDGPU.csdata,"",@progbits
; Kernel info:
; codeLenInByte = 696
; NumSgprs: 25
; NumVgprs: 18
; NumAgprs: 0
; TotalNumVgprs: 18
; ScratchSize: 0
; MemoryBound: 0
; FloatMode: 240
; IeeeMode: 1
; LDSByteSize: 0 bytes/workgroup (compile time only)
; SGPRBlocks: 3
; VGPRBlocks: 2
; NumSGPRsForWavesPerEU: 25
; NumVGPRsForWavesPerEU: 18
; AccumOffset: 20
; Occupancy: 8
; WaveLimiterHint : 0
; COMPUTE_PGM_RSRC2:SCRATCH_EN: 0
; COMPUTE_PGM_RSRC2:USER_SGPR: 6
; COMPUTE_PGM_RSRC2:TRAP_HANDLER: 0
; COMPUTE_PGM_RSRC2:TGID_X_EN: 1
; COMPUTE_PGM_RSRC2:TGID_Y_EN: 0
; COMPUTE_PGM_RSRC2:TGID_Z_EN: 0
; COMPUTE_PGM_RSRC2:TIDIG_COMP_CNT: 0
; COMPUTE_PGM_RSRC3_GFX90A:ACCUM_OFFSET: 4
; COMPUTE_PGM_RSRC3_GFX90A:TG_SPLIT: 0
	.section	.text._ZN9rocsparseL19nnz_compress_kernelILi1024ELi128ELi8EfEEvi21rocsparse_index_base_PKT2_PKiPiS2_,"axG",@progbits,_ZN9rocsparseL19nnz_compress_kernelILi1024ELi128ELi8EfEEvi21rocsparse_index_base_PKT2_PKiPiS2_,comdat
	.globl	_ZN9rocsparseL19nnz_compress_kernelILi1024ELi128ELi8EfEEvi21rocsparse_index_base_PKT2_PKiPiS2_ ; -- Begin function _ZN9rocsparseL19nnz_compress_kernelILi1024ELi128ELi8EfEEvi21rocsparse_index_base_PKT2_PKiPiS2_
	.p2align	8
	.type	_ZN9rocsparseL19nnz_compress_kernelILi1024ELi128ELi8EfEEvi21rocsparse_index_base_PKT2_PKiPiS2_,@function
_ZN9rocsparseL19nnz_compress_kernelILi1024ELi128ELi8EfEEvi21rocsparse_index_base_PKT2_PKiPiS2_: ; @_ZN9rocsparseL19nnz_compress_kernelILi1024ELi128ELi8EfEEvi21rocsparse_index_base_PKT2_PKiPiS2_
; %bb.0:
	s_load_dwordx2 s[0:1], s[4:5], 0x0
	v_lshrrev_b32_e32 v1, 3, v0
	v_lshl_or_b32 v2, s6, 7, v1
	s_waitcnt lgkmcnt(0)
	v_cmp_gt_i32_e32 vcc, s0, v2
	s_and_saveexec_b64 s[2:3], vcc
	s_cbranch_execz .LBB2_12
; %bb.1:
	s_load_dwordx4 s[8:11], s[4:5], 0x10
	v_ashrrev_i32_e32 v3, 31, v2
	v_lshlrev_b64 v[2:3], 2, v[2:3]
	v_mov_b32_e32 v7, 0
	s_waitcnt lgkmcnt(0)
	v_mov_b32_e32 v1, s9
	v_add_co_u32_e32 v4, vcc, s8, v2
	v_addc_co_u32_e32 v5, vcc, v1, v3, vcc
	global_load_dwordx2 v[4:5], v[4:5], off
	v_and_b32_e32 v1, 7, v0
	v_subrev_u32_e32 v0, s1, v1
	s_waitcnt vmcnt(0)
	v_subrev_u32_e32 v6, s1, v5
	v_add_u32_e32 v0, v4, v0
	v_cmp_lt_i32_e32 vcc, v0, v6
	s_and_saveexec_b64 s[8:9], vcc
	s_cbranch_execz .LBB2_11
; %bb.2:
	v_add_u32_e32 v5, v4, v1
	v_subrev_u32_e32 v5, s1, v5
	s_load_dwordx2 s[12:13], s[4:5], 0x8
	s_load_dword s18, s[4:5], 0x20
	v_add_u32_e32 v5, 8, v5
	v_max_i32_e32 v5, v5, v6
	v_not_b32_e32 v4, v4
	v_add3_u32 v4, v5, s1, v4
	v_sub_u32_e32 v1, v4, v1
	v_cmp_lt_u32_e32 vcc, 7, v1
	s_mov_b64 s[0:1], -1
	v_mov_b32_e32 v7, 0
	s_and_saveexec_b64 s[14:15], vcc
	s_cbranch_execz .LBB2_6
; %bb.3:
	v_lshrrev_b32_e32 v1, 3, v1
	v_add_u32_e32 v8, 1, v1
	v_and_b32_e32 v9, 0x3ffffffe, v8
	v_add_u32_e32 v1, 8, v0
	s_waitcnt lgkmcnt(0)
	s_mov_b32 s19, s18
	s_mov_b64 s[16:17], 0
	v_mov_b32_e32 v7, 0
	v_mov_b32_e32 v10, s13
	s_mov_b32 s20, 0x800000
	v_mov_b32_e32 v11, v9
	v_pk_mov_b32 v[4:5], v[0:1], v[0:1] op_sel:[0,1]
	v_mov_b32_e32 v1, 0
.LBB2_4:                                ; =>This Inner Loop Header: Depth=1
	v_ashrrev_i32_e32 v15, 31, v4
	v_mov_b32_e32 v14, v4
	v_lshlrev_b64 v[14:15], 2, v[14:15]
	v_ashrrev_i32_e32 v13, 31, v5
	v_mov_b32_e32 v12, v5
	v_add_co_u32_e32 v14, vcc, s12, v14
	v_lshlrev_b64 v[12:13], 2, v[12:13]
	v_addc_co_u32_e32 v15, vcc, v10, v15, vcc
	v_add_co_u32_e32 v12, vcc, s12, v12
	v_addc_co_u32_e32 v13, vcc, v10, v13, vcc
	global_load_dword v16, v[14:15], off
	global_load_dword v17, v[12:13], off
	v_add_u32_e32 v11, -2, v11
	v_cmp_eq_u32_e32 vcc, 0, v11
	v_add_u32_e32 v5, 16, v5
	v_add_u32_e32 v4, 16, v4
	s_waitcnt vmcnt(1)
	v_cmp_gt_f32_e64 s[0:1], 0, v16
	v_cndmask_b32_e64 v12, v16, -v16, s[0:1]
	s_waitcnt vmcnt(0)
	v_cmp_gt_f32_e64 s[0:1], 0, v17
	v_cndmask_b32_e64 v13, v17, -v17, s[0:1]
	v_cmp_lt_f32_e64 s[0:1], s19, v13
	v_cmp_lt_f32_e64 s[4:5], s20, v13
	s_and_b64 s[0:1], s[0:1], s[4:5]
	v_cmp_lt_f32_e64 s[2:3], s18, v12
	v_cmp_lt_f32_e64 s[6:7], s20, v12
	v_addc_co_u32_e64 v1, s[0:1], 0, v1, s[0:1]
	s_and_b64 s[0:1], s[2:3], s[6:7]
	s_or_b64 s[16:17], vcc, s[16:17]
	v_addc_co_u32_e64 v7, vcc, 0, v7, s[0:1]
	s_andn2_b64 exec, exec, s[16:17]
	s_cbranch_execnz .LBB2_4
; %bb.5:
	s_or_b64 exec, exec, s[16:17]
	v_cmp_ne_u32_e32 vcc, v8, v9
	v_lshl_add_u32 v0, v9, 3, v0
	v_add_u32_e32 v7, v7, v1
	s_orn2_b64 s[0:1], vcc, exec
.LBB2_6:
	s_or_b64 exec, exec, s[14:15]
	s_and_saveexec_b64 s[4:5], s[0:1]
	s_cbranch_execz .LBB2_10
; %bb.7:
	v_ashrrev_i32_e32 v1, 31, v0
	v_lshlrev_b64 v[4:5], 2, v[0:1]
	s_waitcnt lgkmcnt(0)
	v_mov_b32_e32 v1, s13
	v_add_co_u32_e32 v4, vcc, s12, v4
	v_addc_co_u32_e32 v5, vcc, v1, v5, vcc
	s_mov_b64 s[6:7], 0
	s_mov_b32 s12, 0x800000
.LBB2_8:                                ; =>This Inner Loop Header: Depth=1
	global_load_dword v1, v[4:5], off
	v_add_co_u32_e32 v4, vcc, 32, v4
	v_add_u32_e32 v0, 8, v0
	v_addc_co_u32_e32 v5, vcc, 0, v5, vcc
	v_cmp_ge_i32_e32 vcc, v0, v6
	s_waitcnt vmcnt(0)
	v_cmp_gt_f32_e64 s[0:1], 0, v1
	v_cndmask_b32_e64 v1, v1, -v1, s[0:1]
	v_cmp_lt_f32_e64 s[0:1], s18, v1
	v_cmp_lt_f32_e64 s[2:3], s12, v1
	s_and_b64 s[0:1], s[0:1], s[2:3]
	s_or_b64 s[6:7], vcc, s[6:7]
	v_addc_co_u32_e64 v7, vcc, 0, v7, s[0:1]
	s_andn2_b64 exec, exec, s[6:7]
	s_cbranch_execnz .LBB2_8
; %bb.9:
	s_or_b64 exec, exec, s[6:7]
.LBB2_10:
	s_or_b64 exec, exec, s[4:5]
.LBB2_11:
	s_or_b64 exec, exec, s[8:9]
	v_mov_b32_dpp v0, v7 row_shr:1 row_mask:0xf bank_mask:0xf
	v_add_u32_e32 v0, v0, v7
	s_nop 1
	v_mov_b32_dpp v1, v0 row_shr:2 row_mask:0xf bank_mask:0xf
	v_add_u32_e32 v0, v0, v1
	s_nop 1
	v_mov_b32_dpp v1, v0 row_shr:4 row_mask:0xf bank_mask:0xe
	v_add_u32_e32 v0, v0, v1
	v_mbcnt_lo_u32_b32 v1, -1, 0
	v_mbcnt_hi_u32_b32 v1, -1, v1
	v_lshl_or_b32 v1, v1, 2, 28
	ds_bpermute_b32 v4, v1, v0
	v_mov_b32_e32 v1, s11
	v_add_co_u32_e32 v0, vcc, s10, v2
	v_addc_co_u32_e32 v1, vcc, v1, v3, vcc
	s_waitcnt lgkmcnt(0)
	global_store_dword v[0:1], v4, off
.LBB2_12:
	s_endpgm
	.section	.rodata,"a",@progbits
	.p2align	6, 0x0
	.amdhsa_kernel _ZN9rocsparseL19nnz_compress_kernelILi1024ELi128ELi8EfEEvi21rocsparse_index_base_PKT2_PKiPiS2_
		.amdhsa_group_segment_fixed_size 0
		.amdhsa_private_segment_fixed_size 0
		.amdhsa_kernarg_size 36
		.amdhsa_user_sgpr_count 6
		.amdhsa_user_sgpr_private_segment_buffer 1
		.amdhsa_user_sgpr_dispatch_ptr 0
		.amdhsa_user_sgpr_queue_ptr 0
		.amdhsa_user_sgpr_kernarg_segment_ptr 1
		.amdhsa_user_sgpr_dispatch_id 0
		.amdhsa_user_sgpr_flat_scratch_init 0
		.amdhsa_user_sgpr_kernarg_preload_length 0
		.amdhsa_user_sgpr_kernarg_preload_offset 0
		.amdhsa_user_sgpr_private_segment_size 0
		.amdhsa_uses_dynamic_stack 0
		.amdhsa_system_sgpr_private_segment_wavefront_offset 0
		.amdhsa_system_sgpr_workgroup_id_x 1
		.amdhsa_system_sgpr_workgroup_id_y 0
		.amdhsa_system_sgpr_workgroup_id_z 0
		.amdhsa_system_sgpr_workgroup_info 0
		.amdhsa_system_vgpr_workitem_id 0
		.amdhsa_next_free_vgpr 18
		.amdhsa_next_free_sgpr 21
		.amdhsa_accum_offset 20
		.amdhsa_reserve_vcc 1
		.amdhsa_reserve_flat_scratch 0
		.amdhsa_float_round_mode_32 0
		.amdhsa_float_round_mode_16_64 0
		.amdhsa_float_denorm_mode_32 3
		.amdhsa_float_denorm_mode_16_64 3
		.amdhsa_dx10_clamp 1
		.amdhsa_ieee_mode 1
		.amdhsa_fp16_overflow 0
		.amdhsa_tg_split 0
		.amdhsa_exception_fp_ieee_invalid_op 0
		.amdhsa_exception_fp_denorm_src 0
		.amdhsa_exception_fp_ieee_div_zero 0
		.amdhsa_exception_fp_ieee_overflow 0
		.amdhsa_exception_fp_ieee_underflow 0
		.amdhsa_exception_fp_ieee_inexact 0
		.amdhsa_exception_int_div_zero 0
	.end_amdhsa_kernel
	.section	.text._ZN9rocsparseL19nnz_compress_kernelILi1024ELi128ELi8EfEEvi21rocsparse_index_base_PKT2_PKiPiS2_,"axG",@progbits,_ZN9rocsparseL19nnz_compress_kernelILi1024ELi128ELi8EfEEvi21rocsparse_index_base_PKT2_PKiPiS2_,comdat
.Lfunc_end2:
	.size	_ZN9rocsparseL19nnz_compress_kernelILi1024ELi128ELi8EfEEvi21rocsparse_index_base_PKT2_PKiPiS2_, .Lfunc_end2-_ZN9rocsparseL19nnz_compress_kernelILi1024ELi128ELi8EfEEvi21rocsparse_index_base_PKT2_PKiPiS2_
                                        ; -- End function
	.section	.AMDGPU.csdata,"",@progbits
; Kernel info:
; codeLenInByte = 712
; NumSgprs: 25
; NumVgprs: 18
; NumAgprs: 0
; TotalNumVgprs: 18
; ScratchSize: 0
; MemoryBound: 0
; FloatMode: 240
; IeeeMode: 1
; LDSByteSize: 0 bytes/workgroup (compile time only)
; SGPRBlocks: 3
; VGPRBlocks: 2
; NumSGPRsForWavesPerEU: 25
; NumVGPRsForWavesPerEU: 18
; AccumOffset: 20
; Occupancy: 8
; WaveLimiterHint : 0
; COMPUTE_PGM_RSRC2:SCRATCH_EN: 0
; COMPUTE_PGM_RSRC2:USER_SGPR: 6
; COMPUTE_PGM_RSRC2:TRAP_HANDLER: 0
; COMPUTE_PGM_RSRC2:TGID_X_EN: 1
; COMPUTE_PGM_RSRC2:TGID_Y_EN: 0
; COMPUTE_PGM_RSRC2:TGID_Z_EN: 0
; COMPUTE_PGM_RSRC2:TIDIG_COMP_CNT: 0
; COMPUTE_PGM_RSRC3_GFX90A:ACCUM_OFFSET: 4
; COMPUTE_PGM_RSRC3_GFX90A:TG_SPLIT: 0
	.section	.text._ZN9rocsparseL19nnz_compress_kernelILi1024ELi64ELi16EfEEvi21rocsparse_index_base_PKT2_PKiPiS2_,"axG",@progbits,_ZN9rocsparseL19nnz_compress_kernelILi1024ELi64ELi16EfEEvi21rocsparse_index_base_PKT2_PKiPiS2_,comdat
	.globl	_ZN9rocsparseL19nnz_compress_kernelILi1024ELi64ELi16EfEEvi21rocsparse_index_base_PKT2_PKiPiS2_ ; -- Begin function _ZN9rocsparseL19nnz_compress_kernelILi1024ELi64ELi16EfEEvi21rocsparse_index_base_PKT2_PKiPiS2_
	.p2align	8
	.type	_ZN9rocsparseL19nnz_compress_kernelILi1024ELi64ELi16EfEEvi21rocsparse_index_base_PKT2_PKiPiS2_,@function
_ZN9rocsparseL19nnz_compress_kernelILi1024ELi64ELi16EfEEvi21rocsparse_index_base_PKT2_PKiPiS2_: ; @_ZN9rocsparseL19nnz_compress_kernelILi1024ELi64ELi16EfEEvi21rocsparse_index_base_PKT2_PKiPiS2_
; %bb.0:
	s_load_dwordx2 s[0:1], s[4:5], 0x0
	v_lshrrev_b32_e32 v1, 4, v0
	v_lshl_or_b32 v2, s6, 6, v1
	s_waitcnt lgkmcnt(0)
	v_cmp_gt_i32_e32 vcc, s0, v2
	s_and_saveexec_b64 s[2:3], vcc
	s_cbranch_execz .LBB3_12
; %bb.1:
	s_load_dwordx4 s[8:11], s[4:5], 0x10
	v_ashrrev_i32_e32 v3, 31, v2
	v_lshlrev_b64 v[2:3], 2, v[2:3]
	v_mov_b32_e32 v7, 0
	s_waitcnt lgkmcnt(0)
	v_mov_b32_e32 v1, s9
	v_add_co_u32_e32 v4, vcc, s8, v2
	v_addc_co_u32_e32 v5, vcc, v1, v3, vcc
	global_load_dwordx2 v[4:5], v[4:5], off
	v_and_b32_e32 v1, 15, v0
	v_subrev_u32_e32 v0, s1, v1
	s_waitcnt vmcnt(0)
	v_subrev_u32_e32 v6, s1, v5
	v_add_u32_e32 v0, v4, v0
	v_cmp_lt_i32_e32 vcc, v0, v6
	s_and_saveexec_b64 s[8:9], vcc
	s_cbranch_execz .LBB3_11
; %bb.2:
	v_add_u32_e32 v5, v4, v1
	v_subrev_u32_e32 v5, s1, v5
	s_load_dwordx2 s[12:13], s[4:5], 0x8
	s_load_dword s18, s[4:5], 0x20
	v_add_u32_e32 v5, 16, v5
	v_max_i32_e32 v5, v5, v6
	v_not_b32_e32 v4, v4
	v_add3_u32 v4, v5, s1, v4
	v_sub_u32_e32 v1, v4, v1
	v_cmp_lt_u32_e32 vcc, 15, v1
	s_mov_b64 s[0:1], -1
	v_mov_b32_e32 v7, 0
	s_and_saveexec_b64 s[14:15], vcc
	s_cbranch_execz .LBB3_6
; %bb.3:
	v_lshrrev_b32_e32 v1, 4, v1
	v_add_u32_e32 v8, 1, v1
	v_and_b32_e32 v9, 0x1ffffffe, v8
	v_add_u32_e32 v1, 16, v0
	s_waitcnt lgkmcnt(0)
	s_mov_b32 s19, s18
	s_mov_b64 s[16:17], 0
	v_mov_b32_e32 v7, 0
	v_mov_b32_e32 v10, s13
	s_mov_b32 s20, 0x800000
	v_mov_b32_e32 v11, v9
	v_pk_mov_b32 v[4:5], v[0:1], v[0:1] op_sel:[0,1]
	v_mov_b32_e32 v1, 0
.LBB3_4:                                ; =>This Inner Loop Header: Depth=1
	v_ashrrev_i32_e32 v15, 31, v4
	v_mov_b32_e32 v14, v4
	v_lshlrev_b64 v[14:15], 2, v[14:15]
	v_ashrrev_i32_e32 v13, 31, v5
	v_mov_b32_e32 v12, v5
	v_add_co_u32_e32 v14, vcc, s12, v14
	v_lshlrev_b64 v[12:13], 2, v[12:13]
	v_addc_co_u32_e32 v15, vcc, v10, v15, vcc
	v_add_co_u32_e32 v12, vcc, s12, v12
	v_addc_co_u32_e32 v13, vcc, v10, v13, vcc
	global_load_dword v16, v[14:15], off
	global_load_dword v17, v[12:13], off
	v_add_u32_e32 v11, -2, v11
	v_cmp_eq_u32_e32 vcc, 0, v11
	v_add_u32_e32 v5, 32, v5
	v_add_u32_e32 v4, 32, v4
	s_waitcnt vmcnt(1)
	v_cmp_gt_f32_e64 s[0:1], 0, v16
	v_cndmask_b32_e64 v12, v16, -v16, s[0:1]
	s_waitcnt vmcnt(0)
	v_cmp_gt_f32_e64 s[0:1], 0, v17
	v_cndmask_b32_e64 v13, v17, -v17, s[0:1]
	v_cmp_lt_f32_e64 s[0:1], s19, v13
	v_cmp_lt_f32_e64 s[4:5], s20, v13
	s_and_b64 s[0:1], s[0:1], s[4:5]
	v_cmp_lt_f32_e64 s[2:3], s18, v12
	v_cmp_lt_f32_e64 s[6:7], s20, v12
	v_addc_co_u32_e64 v1, s[0:1], 0, v1, s[0:1]
	s_and_b64 s[0:1], s[2:3], s[6:7]
	s_or_b64 s[16:17], vcc, s[16:17]
	v_addc_co_u32_e64 v7, vcc, 0, v7, s[0:1]
	s_andn2_b64 exec, exec, s[16:17]
	s_cbranch_execnz .LBB3_4
; %bb.5:
	s_or_b64 exec, exec, s[16:17]
	v_cmp_ne_u32_e32 vcc, v8, v9
	v_lshl_add_u32 v0, v9, 4, v0
	v_add_u32_e32 v7, v7, v1
	s_orn2_b64 s[0:1], vcc, exec
.LBB3_6:
	s_or_b64 exec, exec, s[14:15]
	s_and_saveexec_b64 s[4:5], s[0:1]
	s_cbranch_execz .LBB3_10
; %bb.7:
	v_ashrrev_i32_e32 v1, 31, v0
	v_lshlrev_b64 v[4:5], 2, v[0:1]
	s_waitcnt lgkmcnt(0)
	v_mov_b32_e32 v1, s13
	v_add_co_u32_e32 v4, vcc, s12, v4
	v_addc_co_u32_e32 v5, vcc, v1, v5, vcc
	s_mov_b64 s[6:7], 0
	s_mov_b32 s12, 0x800000
.LBB3_8:                                ; =>This Inner Loop Header: Depth=1
	global_load_dword v1, v[4:5], off
	v_add_co_u32_e32 v4, vcc, 64, v4
	v_add_u32_e32 v0, 16, v0
	v_addc_co_u32_e32 v5, vcc, 0, v5, vcc
	v_cmp_ge_i32_e32 vcc, v0, v6
	s_waitcnt vmcnt(0)
	v_cmp_gt_f32_e64 s[0:1], 0, v1
	v_cndmask_b32_e64 v1, v1, -v1, s[0:1]
	v_cmp_lt_f32_e64 s[0:1], s18, v1
	v_cmp_lt_f32_e64 s[2:3], s12, v1
	s_and_b64 s[0:1], s[0:1], s[2:3]
	s_or_b64 s[6:7], vcc, s[6:7]
	v_addc_co_u32_e64 v7, vcc, 0, v7, s[0:1]
	s_andn2_b64 exec, exec, s[6:7]
	s_cbranch_execnz .LBB3_8
; %bb.9:
	s_or_b64 exec, exec, s[6:7]
.LBB3_10:
	s_or_b64 exec, exec, s[4:5]
.LBB3_11:
	s_or_b64 exec, exec, s[8:9]
	v_mov_b32_dpp v0, v7 row_shr:1 row_mask:0xf bank_mask:0xf
	v_add_u32_e32 v0, v0, v7
	s_nop 1
	v_mov_b32_dpp v1, v0 row_shr:2 row_mask:0xf bank_mask:0xf
	v_add_u32_e32 v0, v0, v1
	s_nop 1
	;; [unrolled: 3-line block ×3, first 2 shown]
	v_mov_b32_dpp v1, v0 row_shr:8 row_mask:0xf bank_mask:0xc
	v_add_u32_e32 v0, v0, v1
	v_mbcnt_lo_u32_b32 v1, -1, 0
	v_mbcnt_hi_u32_b32 v1, -1, v1
	v_lshl_or_b32 v1, v1, 2, 60
	ds_bpermute_b32 v4, v1, v0
	v_mov_b32_e32 v1, s11
	v_add_co_u32_e32 v0, vcc, s10, v2
	v_addc_co_u32_e32 v1, vcc, v1, v3, vcc
	s_waitcnt lgkmcnt(0)
	global_store_dword v[0:1], v4, off
.LBB3_12:
	s_endpgm
	.section	.rodata,"a",@progbits
	.p2align	6, 0x0
	.amdhsa_kernel _ZN9rocsparseL19nnz_compress_kernelILi1024ELi64ELi16EfEEvi21rocsparse_index_base_PKT2_PKiPiS2_
		.amdhsa_group_segment_fixed_size 0
		.amdhsa_private_segment_fixed_size 0
		.amdhsa_kernarg_size 36
		.amdhsa_user_sgpr_count 6
		.amdhsa_user_sgpr_private_segment_buffer 1
		.amdhsa_user_sgpr_dispatch_ptr 0
		.amdhsa_user_sgpr_queue_ptr 0
		.amdhsa_user_sgpr_kernarg_segment_ptr 1
		.amdhsa_user_sgpr_dispatch_id 0
		.amdhsa_user_sgpr_flat_scratch_init 0
		.amdhsa_user_sgpr_kernarg_preload_length 0
		.amdhsa_user_sgpr_kernarg_preload_offset 0
		.amdhsa_user_sgpr_private_segment_size 0
		.amdhsa_uses_dynamic_stack 0
		.amdhsa_system_sgpr_private_segment_wavefront_offset 0
		.amdhsa_system_sgpr_workgroup_id_x 1
		.amdhsa_system_sgpr_workgroup_id_y 0
		.amdhsa_system_sgpr_workgroup_id_z 0
		.amdhsa_system_sgpr_workgroup_info 0
		.amdhsa_system_vgpr_workitem_id 0
		.amdhsa_next_free_vgpr 18
		.amdhsa_next_free_sgpr 21
		.amdhsa_accum_offset 20
		.amdhsa_reserve_vcc 1
		.amdhsa_reserve_flat_scratch 0
		.amdhsa_float_round_mode_32 0
		.amdhsa_float_round_mode_16_64 0
		.amdhsa_float_denorm_mode_32 3
		.amdhsa_float_denorm_mode_16_64 3
		.amdhsa_dx10_clamp 1
		.amdhsa_ieee_mode 1
		.amdhsa_fp16_overflow 0
		.amdhsa_tg_split 0
		.amdhsa_exception_fp_ieee_invalid_op 0
		.amdhsa_exception_fp_denorm_src 0
		.amdhsa_exception_fp_ieee_div_zero 0
		.amdhsa_exception_fp_ieee_overflow 0
		.amdhsa_exception_fp_ieee_underflow 0
		.amdhsa_exception_fp_ieee_inexact 0
		.amdhsa_exception_int_div_zero 0
	.end_amdhsa_kernel
	.section	.text._ZN9rocsparseL19nnz_compress_kernelILi1024ELi64ELi16EfEEvi21rocsparse_index_base_PKT2_PKiPiS2_,"axG",@progbits,_ZN9rocsparseL19nnz_compress_kernelILi1024ELi64ELi16EfEEvi21rocsparse_index_base_PKT2_PKiPiS2_,comdat
.Lfunc_end3:
	.size	_ZN9rocsparseL19nnz_compress_kernelILi1024ELi64ELi16EfEEvi21rocsparse_index_base_PKT2_PKiPiS2_, .Lfunc_end3-_ZN9rocsparseL19nnz_compress_kernelILi1024ELi64ELi16EfEEvi21rocsparse_index_base_PKT2_PKiPiS2_
                                        ; -- End function
	.section	.AMDGPU.csdata,"",@progbits
; Kernel info:
; codeLenInByte = 728
; NumSgprs: 25
; NumVgprs: 18
; NumAgprs: 0
; TotalNumVgprs: 18
; ScratchSize: 0
; MemoryBound: 0
; FloatMode: 240
; IeeeMode: 1
; LDSByteSize: 0 bytes/workgroup (compile time only)
; SGPRBlocks: 3
; VGPRBlocks: 2
; NumSGPRsForWavesPerEU: 25
; NumVGPRsForWavesPerEU: 18
; AccumOffset: 20
; Occupancy: 8
; WaveLimiterHint : 0
; COMPUTE_PGM_RSRC2:SCRATCH_EN: 0
; COMPUTE_PGM_RSRC2:USER_SGPR: 6
; COMPUTE_PGM_RSRC2:TRAP_HANDLER: 0
; COMPUTE_PGM_RSRC2:TGID_X_EN: 1
; COMPUTE_PGM_RSRC2:TGID_Y_EN: 0
; COMPUTE_PGM_RSRC2:TGID_Z_EN: 0
; COMPUTE_PGM_RSRC2:TIDIG_COMP_CNT: 0
; COMPUTE_PGM_RSRC3_GFX90A:ACCUM_OFFSET: 4
; COMPUTE_PGM_RSRC3_GFX90A:TG_SPLIT: 0
	.section	.text._ZN9rocsparseL19nnz_compress_kernelILi1024ELi32ELi32EfEEvi21rocsparse_index_base_PKT2_PKiPiS2_,"axG",@progbits,_ZN9rocsparseL19nnz_compress_kernelILi1024ELi32ELi32EfEEvi21rocsparse_index_base_PKT2_PKiPiS2_,comdat
	.globl	_ZN9rocsparseL19nnz_compress_kernelILi1024ELi32ELi32EfEEvi21rocsparse_index_base_PKT2_PKiPiS2_ ; -- Begin function _ZN9rocsparseL19nnz_compress_kernelILi1024ELi32ELi32EfEEvi21rocsparse_index_base_PKT2_PKiPiS2_
	.p2align	8
	.type	_ZN9rocsparseL19nnz_compress_kernelILi1024ELi32ELi32EfEEvi21rocsparse_index_base_PKT2_PKiPiS2_,@function
_ZN9rocsparseL19nnz_compress_kernelILi1024ELi32ELi32EfEEvi21rocsparse_index_base_PKT2_PKiPiS2_: ; @_ZN9rocsparseL19nnz_compress_kernelILi1024ELi32ELi32EfEEvi21rocsparse_index_base_PKT2_PKiPiS2_
; %bb.0:
	s_load_dwordx2 s[0:1], s[4:5], 0x0
	v_lshrrev_b32_e32 v1, 5, v0
	v_lshl_or_b32 v2, s6, 5, v1
	s_waitcnt lgkmcnt(0)
	v_cmp_gt_i32_e32 vcc, s0, v2
	s_and_saveexec_b64 s[2:3], vcc
	s_cbranch_execz .LBB4_12
; %bb.1:
	s_load_dwordx4 s[8:11], s[4:5], 0x10
	v_ashrrev_i32_e32 v3, 31, v2
	v_lshlrev_b64 v[2:3], 2, v[2:3]
	v_mov_b32_e32 v7, 0
	s_waitcnt lgkmcnt(0)
	v_mov_b32_e32 v1, s9
	v_add_co_u32_e32 v4, vcc, s8, v2
	v_addc_co_u32_e32 v5, vcc, v1, v3, vcc
	global_load_dwordx2 v[4:5], v[4:5], off
	v_and_b32_e32 v1, 31, v0
	v_subrev_u32_e32 v0, s1, v1
	s_waitcnt vmcnt(0)
	v_subrev_u32_e32 v6, s1, v5
	v_add_u32_e32 v0, v4, v0
	v_cmp_lt_i32_e32 vcc, v0, v6
	s_and_saveexec_b64 s[8:9], vcc
	s_cbranch_execz .LBB4_11
; %bb.2:
	v_add_u32_e32 v5, v4, v1
	v_subrev_u32_e32 v5, s1, v5
	s_load_dwordx2 s[12:13], s[4:5], 0x8
	s_load_dword s18, s[4:5], 0x20
	v_add_u32_e32 v5, 32, v5
	v_max_i32_e32 v5, v5, v6
	v_not_b32_e32 v4, v4
	v_add3_u32 v4, v5, s1, v4
	v_sub_u32_e32 v1, v4, v1
	v_cmp_lt_u32_e32 vcc, 31, v1
	s_mov_b64 s[0:1], -1
	v_mov_b32_e32 v7, 0
	s_and_saveexec_b64 s[14:15], vcc
	s_cbranch_execz .LBB4_6
; %bb.3:
	v_lshrrev_b32_e32 v1, 5, v1
	v_add_u32_e32 v8, 1, v1
	v_and_b32_e32 v9, 0xffffffe, v8
	v_add_u32_e32 v1, 32, v0
	s_waitcnt lgkmcnt(0)
	s_mov_b32 s19, s18
	s_mov_b64 s[16:17], 0
	v_mov_b32_e32 v7, 0
	v_mov_b32_e32 v10, s13
	s_mov_b32 s20, 0x800000
	v_mov_b32_e32 v11, v9
	v_pk_mov_b32 v[4:5], v[0:1], v[0:1] op_sel:[0,1]
	v_mov_b32_e32 v1, 0
.LBB4_4:                                ; =>This Inner Loop Header: Depth=1
	v_ashrrev_i32_e32 v15, 31, v4
	v_mov_b32_e32 v14, v4
	v_lshlrev_b64 v[14:15], 2, v[14:15]
	v_ashrrev_i32_e32 v13, 31, v5
	v_mov_b32_e32 v12, v5
	v_add_co_u32_e32 v14, vcc, s12, v14
	v_lshlrev_b64 v[12:13], 2, v[12:13]
	v_addc_co_u32_e32 v15, vcc, v10, v15, vcc
	v_add_co_u32_e32 v12, vcc, s12, v12
	v_addc_co_u32_e32 v13, vcc, v10, v13, vcc
	global_load_dword v16, v[14:15], off
	global_load_dword v17, v[12:13], off
	v_add_u32_e32 v11, -2, v11
	v_cmp_eq_u32_e32 vcc, 0, v11
	v_add_u32_e32 v5, 64, v5
	v_add_u32_e32 v4, 64, v4
	s_waitcnt vmcnt(1)
	v_cmp_gt_f32_e64 s[0:1], 0, v16
	v_cndmask_b32_e64 v12, v16, -v16, s[0:1]
	s_waitcnt vmcnt(0)
	v_cmp_gt_f32_e64 s[0:1], 0, v17
	v_cndmask_b32_e64 v13, v17, -v17, s[0:1]
	v_cmp_lt_f32_e64 s[0:1], s19, v13
	v_cmp_lt_f32_e64 s[4:5], s20, v13
	s_and_b64 s[0:1], s[0:1], s[4:5]
	v_cmp_lt_f32_e64 s[2:3], s18, v12
	v_cmp_lt_f32_e64 s[6:7], s20, v12
	v_addc_co_u32_e64 v1, s[0:1], 0, v1, s[0:1]
	s_and_b64 s[0:1], s[2:3], s[6:7]
	s_or_b64 s[16:17], vcc, s[16:17]
	v_addc_co_u32_e64 v7, vcc, 0, v7, s[0:1]
	s_andn2_b64 exec, exec, s[16:17]
	s_cbranch_execnz .LBB4_4
; %bb.5:
	s_or_b64 exec, exec, s[16:17]
	v_cmp_ne_u32_e32 vcc, v8, v9
	v_lshl_add_u32 v0, v9, 5, v0
	v_add_u32_e32 v7, v7, v1
	s_orn2_b64 s[0:1], vcc, exec
.LBB4_6:
	s_or_b64 exec, exec, s[14:15]
	s_and_saveexec_b64 s[4:5], s[0:1]
	s_cbranch_execz .LBB4_10
; %bb.7:
	v_ashrrev_i32_e32 v1, 31, v0
	v_lshlrev_b64 v[4:5], 2, v[0:1]
	s_waitcnt lgkmcnt(0)
	v_mov_b32_e32 v1, s13
	v_add_co_u32_e32 v4, vcc, s12, v4
	v_addc_co_u32_e32 v5, vcc, v1, v5, vcc
	s_mov_b64 s[6:7], 0
	s_mov_b32 s12, 0x800000
.LBB4_8:                                ; =>This Inner Loop Header: Depth=1
	global_load_dword v1, v[4:5], off
	v_add_co_u32_e32 v4, vcc, 0x80, v4
	v_add_u32_e32 v0, 32, v0
	v_addc_co_u32_e32 v5, vcc, 0, v5, vcc
	v_cmp_ge_i32_e32 vcc, v0, v6
	s_waitcnt vmcnt(0)
	v_cmp_gt_f32_e64 s[0:1], 0, v1
	v_cndmask_b32_e64 v1, v1, -v1, s[0:1]
	v_cmp_lt_f32_e64 s[0:1], s18, v1
	v_cmp_lt_f32_e64 s[2:3], s12, v1
	s_and_b64 s[0:1], s[0:1], s[2:3]
	s_or_b64 s[6:7], vcc, s[6:7]
	v_addc_co_u32_e64 v7, vcc, 0, v7, s[0:1]
	s_andn2_b64 exec, exec, s[6:7]
	s_cbranch_execnz .LBB4_8
; %bb.9:
	s_or_b64 exec, exec, s[6:7]
.LBB4_10:
	s_or_b64 exec, exec, s[4:5]
.LBB4_11:
	s_or_b64 exec, exec, s[8:9]
	v_mov_b32_dpp v0, v7 row_shr:1 row_mask:0xf bank_mask:0xf
	v_add_u32_e32 v0, v0, v7
	v_mov_b32_e32 v4, 0x7c
	s_nop 0
	v_mov_b32_dpp v1, v0 row_shr:2 row_mask:0xf bank_mask:0xf
	v_add_u32_e32 v0, v0, v1
	s_nop 1
	v_mov_b32_dpp v1, v0 row_shr:4 row_mask:0xf bank_mask:0xe
	v_add_u32_e32 v0, v0, v1
	;; [unrolled: 3-line block ×3, first 2 shown]
	s_nop 1
	v_mov_b32_dpp v1, v0 row_bcast:15 row_mask:0xa bank_mask:0xf
	v_add_u32_e32 v0, v0, v1
	v_mbcnt_lo_u32_b32 v1, -1, 0
	v_mbcnt_hi_u32_b32 v1, -1, v1
	v_lshl_or_b32 v1, v1, 2, v4
	ds_bpermute_b32 v4, v1, v0
	v_mov_b32_e32 v1, s11
	v_add_co_u32_e32 v0, vcc, s10, v2
	v_addc_co_u32_e32 v1, vcc, v1, v3, vcc
	s_waitcnt lgkmcnt(0)
	global_store_dword v[0:1], v4, off
.LBB4_12:
	s_endpgm
	.section	.rodata,"a",@progbits
	.p2align	6, 0x0
	.amdhsa_kernel _ZN9rocsparseL19nnz_compress_kernelILi1024ELi32ELi32EfEEvi21rocsparse_index_base_PKT2_PKiPiS2_
		.amdhsa_group_segment_fixed_size 0
		.amdhsa_private_segment_fixed_size 0
		.amdhsa_kernarg_size 36
		.amdhsa_user_sgpr_count 6
		.amdhsa_user_sgpr_private_segment_buffer 1
		.amdhsa_user_sgpr_dispatch_ptr 0
		.amdhsa_user_sgpr_queue_ptr 0
		.amdhsa_user_sgpr_kernarg_segment_ptr 1
		.amdhsa_user_sgpr_dispatch_id 0
		.amdhsa_user_sgpr_flat_scratch_init 0
		.amdhsa_user_sgpr_kernarg_preload_length 0
		.amdhsa_user_sgpr_kernarg_preload_offset 0
		.amdhsa_user_sgpr_private_segment_size 0
		.amdhsa_uses_dynamic_stack 0
		.amdhsa_system_sgpr_private_segment_wavefront_offset 0
		.amdhsa_system_sgpr_workgroup_id_x 1
		.amdhsa_system_sgpr_workgroup_id_y 0
		.amdhsa_system_sgpr_workgroup_id_z 0
		.amdhsa_system_sgpr_workgroup_info 0
		.amdhsa_system_vgpr_workitem_id 0
		.amdhsa_next_free_vgpr 18
		.amdhsa_next_free_sgpr 21
		.amdhsa_accum_offset 20
		.amdhsa_reserve_vcc 1
		.amdhsa_reserve_flat_scratch 0
		.amdhsa_float_round_mode_32 0
		.amdhsa_float_round_mode_16_64 0
		.amdhsa_float_denorm_mode_32 3
		.amdhsa_float_denorm_mode_16_64 3
		.amdhsa_dx10_clamp 1
		.amdhsa_ieee_mode 1
		.amdhsa_fp16_overflow 0
		.amdhsa_tg_split 0
		.amdhsa_exception_fp_ieee_invalid_op 0
		.amdhsa_exception_fp_denorm_src 0
		.amdhsa_exception_fp_ieee_div_zero 0
		.amdhsa_exception_fp_ieee_overflow 0
		.amdhsa_exception_fp_ieee_underflow 0
		.amdhsa_exception_fp_ieee_inexact 0
		.amdhsa_exception_int_div_zero 0
	.end_amdhsa_kernel
	.section	.text._ZN9rocsparseL19nnz_compress_kernelILi1024ELi32ELi32EfEEvi21rocsparse_index_base_PKT2_PKiPiS2_,"axG",@progbits,_ZN9rocsparseL19nnz_compress_kernelILi1024ELi32ELi32EfEEvi21rocsparse_index_base_PKT2_PKiPiS2_,comdat
.Lfunc_end4:
	.size	_ZN9rocsparseL19nnz_compress_kernelILi1024ELi32ELi32EfEEvi21rocsparse_index_base_PKT2_PKiPiS2_, .Lfunc_end4-_ZN9rocsparseL19nnz_compress_kernelILi1024ELi32ELi32EfEEvi21rocsparse_index_base_PKT2_PKiPiS2_
                                        ; -- End function
	.section	.AMDGPU.csdata,"",@progbits
; Kernel info:
; codeLenInByte = 756
; NumSgprs: 25
; NumVgprs: 18
; NumAgprs: 0
; TotalNumVgprs: 18
; ScratchSize: 0
; MemoryBound: 0
; FloatMode: 240
; IeeeMode: 1
; LDSByteSize: 0 bytes/workgroup (compile time only)
; SGPRBlocks: 3
; VGPRBlocks: 2
; NumSGPRsForWavesPerEU: 25
; NumVGPRsForWavesPerEU: 18
; AccumOffset: 20
; Occupancy: 8
; WaveLimiterHint : 0
; COMPUTE_PGM_RSRC2:SCRATCH_EN: 0
; COMPUTE_PGM_RSRC2:USER_SGPR: 6
; COMPUTE_PGM_RSRC2:TRAP_HANDLER: 0
; COMPUTE_PGM_RSRC2:TGID_X_EN: 1
; COMPUTE_PGM_RSRC2:TGID_Y_EN: 0
; COMPUTE_PGM_RSRC2:TGID_Z_EN: 0
; COMPUTE_PGM_RSRC2:TIDIG_COMP_CNT: 0
; COMPUTE_PGM_RSRC3_GFX90A:ACCUM_OFFSET: 4
; COMPUTE_PGM_RSRC3_GFX90A:TG_SPLIT: 0
	.section	.text._ZN9rocsparseL19nnz_compress_kernelILi1024ELi16ELi64EfEEvi21rocsparse_index_base_PKT2_PKiPiS2_,"axG",@progbits,_ZN9rocsparseL19nnz_compress_kernelILi1024ELi16ELi64EfEEvi21rocsparse_index_base_PKT2_PKiPiS2_,comdat
	.globl	_ZN9rocsparseL19nnz_compress_kernelILi1024ELi16ELi64EfEEvi21rocsparse_index_base_PKT2_PKiPiS2_ ; -- Begin function _ZN9rocsparseL19nnz_compress_kernelILi1024ELi16ELi64EfEEvi21rocsparse_index_base_PKT2_PKiPiS2_
	.p2align	8
	.type	_ZN9rocsparseL19nnz_compress_kernelILi1024ELi16ELi64EfEEvi21rocsparse_index_base_PKT2_PKiPiS2_,@function
_ZN9rocsparseL19nnz_compress_kernelILi1024ELi16ELi64EfEEvi21rocsparse_index_base_PKT2_PKiPiS2_: ; @_ZN9rocsparseL19nnz_compress_kernelILi1024ELi16ELi64EfEEvi21rocsparse_index_base_PKT2_PKiPiS2_
; %bb.0:
	s_load_dwordx2 s[0:1], s[4:5], 0x0
	v_lshrrev_b32_e32 v1, 6, v0
	v_lshl_or_b32 v2, s6, 4, v1
	s_waitcnt lgkmcnt(0)
	v_cmp_gt_i32_e32 vcc, s0, v2
	s_and_saveexec_b64 s[2:3], vcc
	s_cbranch_execz .LBB5_12
; %bb.1:
	s_load_dwordx4 s[8:11], s[4:5], 0x10
	v_ashrrev_i32_e32 v3, 31, v2
	v_lshlrev_b64 v[2:3], 2, v[2:3]
	v_mov_b32_e32 v7, 0
	s_waitcnt lgkmcnt(0)
	v_mov_b32_e32 v1, s9
	v_add_co_u32_e32 v4, vcc, s8, v2
	v_addc_co_u32_e32 v5, vcc, v1, v3, vcc
	global_load_dwordx2 v[4:5], v[4:5], off
	v_and_b32_e32 v1, 63, v0
	v_subrev_u32_e32 v0, s1, v1
	s_waitcnt vmcnt(0)
	v_subrev_u32_e32 v6, s1, v5
	v_add_u32_e32 v0, v4, v0
	v_cmp_lt_i32_e32 vcc, v0, v6
	s_and_saveexec_b64 s[8:9], vcc
	s_cbranch_execz .LBB5_11
; %bb.2:
	v_add_u32_e32 v5, v4, v1
	v_subrev_u32_e32 v5, s1, v5
	s_load_dwordx2 s[12:13], s[4:5], 0x8
	s_load_dword s18, s[4:5], 0x20
	v_add_u32_e32 v5, 64, v5
	v_max_i32_e32 v5, v5, v6
	v_not_b32_e32 v4, v4
	v_add3_u32 v4, v5, s1, v4
	v_sub_u32_e32 v1, v4, v1
	v_cmp_lt_u32_e32 vcc, 63, v1
	s_mov_b64 s[0:1], -1
	v_mov_b32_e32 v7, 0
	s_and_saveexec_b64 s[14:15], vcc
	s_cbranch_execz .LBB5_6
; %bb.3:
	v_lshrrev_b32_e32 v1, 6, v1
	v_add_u32_e32 v8, 1, v1
	v_and_b32_e32 v9, 0x7fffffe, v8
	v_add_u32_e32 v1, 64, v0
	s_waitcnt lgkmcnt(0)
	s_mov_b32 s19, s18
	s_mov_b64 s[16:17], 0
	v_mov_b32_e32 v7, 0
	v_mov_b32_e32 v10, s13
	s_mov_b32 s20, 0x800000
	v_mov_b32_e32 v11, v9
	v_pk_mov_b32 v[4:5], v[0:1], v[0:1] op_sel:[0,1]
	v_mov_b32_e32 v1, 0
.LBB5_4:                                ; =>This Inner Loop Header: Depth=1
	v_ashrrev_i32_e32 v15, 31, v4
	v_mov_b32_e32 v14, v4
	v_lshlrev_b64 v[14:15], 2, v[14:15]
	v_ashrrev_i32_e32 v13, 31, v5
	v_mov_b32_e32 v12, v5
	v_add_co_u32_e32 v14, vcc, s12, v14
	v_lshlrev_b64 v[12:13], 2, v[12:13]
	v_addc_co_u32_e32 v15, vcc, v10, v15, vcc
	v_add_co_u32_e32 v12, vcc, s12, v12
	v_addc_co_u32_e32 v13, vcc, v10, v13, vcc
	global_load_dword v16, v[14:15], off
	global_load_dword v17, v[12:13], off
	v_add_u32_e32 v11, -2, v11
	v_cmp_eq_u32_e32 vcc, 0, v11
	v_add_u32_e32 v5, 0x80, v5
	v_add_u32_e32 v4, 0x80, v4
	s_waitcnt vmcnt(1)
	v_cmp_gt_f32_e64 s[0:1], 0, v16
	v_cndmask_b32_e64 v12, v16, -v16, s[0:1]
	s_waitcnt vmcnt(0)
	v_cmp_gt_f32_e64 s[0:1], 0, v17
	v_cndmask_b32_e64 v13, v17, -v17, s[0:1]
	v_cmp_lt_f32_e64 s[0:1], s19, v13
	v_cmp_lt_f32_e64 s[4:5], s20, v13
	s_and_b64 s[0:1], s[0:1], s[4:5]
	v_cmp_lt_f32_e64 s[2:3], s18, v12
	v_cmp_lt_f32_e64 s[6:7], s20, v12
	v_addc_co_u32_e64 v1, s[0:1], 0, v1, s[0:1]
	s_and_b64 s[0:1], s[2:3], s[6:7]
	s_or_b64 s[16:17], vcc, s[16:17]
	v_addc_co_u32_e64 v7, vcc, 0, v7, s[0:1]
	s_andn2_b64 exec, exec, s[16:17]
	s_cbranch_execnz .LBB5_4
; %bb.5:
	s_or_b64 exec, exec, s[16:17]
	v_cmp_ne_u32_e32 vcc, v8, v9
	v_lshl_add_u32 v0, v9, 6, v0
	v_add_u32_e32 v7, v7, v1
	s_orn2_b64 s[0:1], vcc, exec
.LBB5_6:
	s_or_b64 exec, exec, s[14:15]
	s_and_saveexec_b64 s[4:5], s[0:1]
	s_cbranch_execz .LBB5_10
; %bb.7:
	v_ashrrev_i32_e32 v1, 31, v0
	v_lshlrev_b64 v[4:5], 2, v[0:1]
	s_waitcnt lgkmcnt(0)
	v_mov_b32_e32 v1, s13
	v_add_co_u32_e32 v4, vcc, s12, v4
	v_addc_co_u32_e32 v5, vcc, v1, v5, vcc
	s_mov_b64 s[6:7], 0
	s_mov_b32 s12, 0x800000
.LBB5_8:                                ; =>This Inner Loop Header: Depth=1
	global_load_dword v1, v[4:5], off
	v_add_co_u32_e32 v4, vcc, 0x100, v4
	v_add_u32_e32 v0, 64, v0
	v_addc_co_u32_e32 v5, vcc, 0, v5, vcc
	v_cmp_ge_i32_e32 vcc, v0, v6
	s_waitcnt vmcnt(0)
	v_cmp_gt_f32_e64 s[0:1], 0, v1
	v_cndmask_b32_e64 v1, v1, -v1, s[0:1]
	v_cmp_lt_f32_e64 s[0:1], s18, v1
	v_cmp_lt_f32_e64 s[2:3], s12, v1
	s_and_b64 s[0:1], s[0:1], s[2:3]
	s_or_b64 s[6:7], vcc, s[6:7]
	v_addc_co_u32_e64 v7, vcc, 0, v7, s[0:1]
	s_andn2_b64 exec, exec, s[6:7]
	s_cbranch_execnz .LBB5_8
; %bb.9:
	s_or_b64 exec, exec, s[6:7]
.LBB5_10:
	s_or_b64 exec, exec, s[4:5]
.LBB5_11:
	s_or_b64 exec, exec, s[8:9]
	v_mov_b32_dpp v0, v7 row_shr:1 row_mask:0xf bank_mask:0xf
	v_add_u32_e32 v0, v0, v7
	v_bfrev_b32_e32 v4, 0.5
	s_nop 0
	v_mov_b32_dpp v1, v0 row_shr:2 row_mask:0xf bank_mask:0xf
	v_add_u32_e32 v0, v0, v1
	s_nop 1
	v_mov_b32_dpp v1, v0 row_shr:4 row_mask:0xf bank_mask:0xe
	v_add_u32_e32 v0, v0, v1
	;; [unrolled: 3-line block ×3, first 2 shown]
	s_nop 1
	v_mov_b32_dpp v1, v0 row_bcast:15 row_mask:0xa bank_mask:0xf
	v_add_u32_e32 v0, v0, v1
	s_nop 1
	v_mov_b32_dpp v1, v0 row_bcast:31 row_mask:0xc bank_mask:0xf
	v_add_u32_e32 v0, v0, v1
	v_mbcnt_lo_u32_b32 v1, -1, 0
	v_mbcnt_hi_u32_b32 v1, -1, v1
	v_lshl_or_b32 v1, v1, 2, v4
	ds_bpermute_b32 v4, v1, v0
	v_mov_b32_e32 v1, s11
	v_add_co_u32_e32 v0, vcc, s10, v2
	v_addc_co_u32_e32 v1, vcc, v1, v3, vcc
	s_waitcnt lgkmcnt(0)
	global_store_dword v[0:1], v4, off
.LBB5_12:
	s_endpgm
	.section	.rodata,"a",@progbits
	.p2align	6, 0x0
	.amdhsa_kernel _ZN9rocsparseL19nnz_compress_kernelILi1024ELi16ELi64EfEEvi21rocsparse_index_base_PKT2_PKiPiS2_
		.amdhsa_group_segment_fixed_size 0
		.amdhsa_private_segment_fixed_size 0
		.amdhsa_kernarg_size 36
		.amdhsa_user_sgpr_count 6
		.amdhsa_user_sgpr_private_segment_buffer 1
		.amdhsa_user_sgpr_dispatch_ptr 0
		.amdhsa_user_sgpr_queue_ptr 0
		.amdhsa_user_sgpr_kernarg_segment_ptr 1
		.amdhsa_user_sgpr_dispatch_id 0
		.amdhsa_user_sgpr_flat_scratch_init 0
		.amdhsa_user_sgpr_kernarg_preload_length 0
		.amdhsa_user_sgpr_kernarg_preload_offset 0
		.amdhsa_user_sgpr_private_segment_size 0
		.amdhsa_uses_dynamic_stack 0
		.amdhsa_system_sgpr_private_segment_wavefront_offset 0
		.amdhsa_system_sgpr_workgroup_id_x 1
		.amdhsa_system_sgpr_workgroup_id_y 0
		.amdhsa_system_sgpr_workgroup_id_z 0
		.amdhsa_system_sgpr_workgroup_info 0
		.amdhsa_system_vgpr_workitem_id 0
		.amdhsa_next_free_vgpr 18
		.amdhsa_next_free_sgpr 21
		.amdhsa_accum_offset 20
		.amdhsa_reserve_vcc 1
		.amdhsa_reserve_flat_scratch 0
		.amdhsa_float_round_mode_32 0
		.amdhsa_float_round_mode_16_64 0
		.amdhsa_float_denorm_mode_32 3
		.amdhsa_float_denorm_mode_16_64 3
		.amdhsa_dx10_clamp 1
		.amdhsa_ieee_mode 1
		.amdhsa_fp16_overflow 0
		.amdhsa_tg_split 0
		.amdhsa_exception_fp_ieee_invalid_op 0
		.amdhsa_exception_fp_denorm_src 0
		.amdhsa_exception_fp_ieee_div_zero 0
		.amdhsa_exception_fp_ieee_overflow 0
		.amdhsa_exception_fp_ieee_underflow 0
		.amdhsa_exception_fp_ieee_inexact 0
		.amdhsa_exception_int_div_zero 0
	.end_amdhsa_kernel
	.section	.text._ZN9rocsparseL19nnz_compress_kernelILi1024ELi16ELi64EfEEvi21rocsparse_index_base_PKT2_PKiPiS2_,"axG",@progbits,_ZN9rocsparseL19nnz_compress_kernelILi1024ELi16ELi64EfEEvi21rocsparse_index_base_PKT2_PKiPiS2_,comdat
.Lfunc_end5:
	.size	_ZN9rocsparseL19nnz_compress_kernelILi1024ELi16ELi64EfEEvi21rocsparse_index_base_PKT2_PKiPiS2_, .Lfunc_end5-_ZN9rocsparseL19nnz_compress_kernelILi1024ELi16ELi64EfEEvi21rocsparse_index_base_PKT2_PKiPiS2_
                                        ; -- End function
	.section	.AMDGPU.csdata,"",@progbits
; Kernel info:
; codeLenInByte = 776
; NumSgprs: 25
; NumVgprs: 18
; NumAgprs: 0
; TotalNumVgprs: 18
; ScratchSize: 0
; MemoryBound: 0
; FloatMode: 240
; IeeeMode: 1
; LDSByteSize: 0 bytes/workgroup (compile time only)
; SGPRBlocks: 3
; VGPRBlocks: 2
; NumSGPRsForWavesPerEU: 25
; NumVGPRsForWavesPerEU: 18
; AccumOffset: 20
; Occupancy: 8
; WaveLimiterHint : 0
; COMPUTE_PGM_RSRC2:SCRATCH_EN: 0
; COMPUTE_PGM_RSRC2:USER_SGPR: 6
; COMPUTE_PGM_RSRC2:TRAP_HANDLER: 0
; COMPUTE_PGM_RSRC2:TGID_X_EN: 1
; COMPUTE_PGM_RSRC2:TGID_Y_EN: 0
; COMPUTE_PGM_RSRC2:TGID_Z_EN: 0
; COMPUTE_PGM_RSRC2:TIDIG_COMP_CNT: 0
; COMPUTE_PGM_RSRC3_GFX90A:ACCUM_OFFSET: 4
; COMPUTE_PGM_RSRC3_GFX90A:TG_SPLIT: 0
	.section	.text._ZN9rocsparseL19nnz_compress_kernelILi1024ELi512ELi2EdEEvi21rocsparse_index_base_PKT2_PKiPiS2_,"axG",@progbits,_ZN9rocsparseL19nnz_compress_kernelILi1024ELi512ELi2EdEEvi21rocsparse_index_base_PKT2_PKiPiS2_,comdat
	.globl	_ZN9rocsparseL19nnz_compress_kernelILi1024ELi512ELi2EdEEvi21rocsparse_index_base_PKT2_PKiPiS2_ ; -- Begin function _ZN9rocsparseL19nnz_compress_kernelILi1024ELi512ELi2EdEEvi21rocsparse_index_base_PKT2_PKiPiS2_
	.p2align	8
	.type	_ZN9rocsparseL19nnz_compress_kernelILi1024ELi512ELi2EdEEvi21rocsparse_index_base_PKT2_PKiPiS2_,@function
_ZN9rocsparseL19nnz_compress_kernelILi1024ELi512ELi2EdEEvi21rocsparse_index_base_PKT2_PKiPiS2_: ; @_ZN9rocsparseL19nnz_compress_kernelILi1024ELi512ELi2EdEEvi21rocsparse_index_base_PKT2_PKiPiS2_
; %bb.0:
	s_load_dwordx2 s[0:1], s[4:5], 0x0
	v_lshrrev_b32_e32 v1, 1, v0
	v_lshl_or_b32 v2, s6, 9, v1
	s_waitcnt lgkmcnt(0)
	v_cmp_gt_i32_e32 vcc, s0, v2
	s_and_saveexec_b64 s[2:3], vcc
	s_cbranch_execz .LBB6_6
; %bb.1:
	s_load_dwordx4 s[8:11], s[4:5], 0x10
	v_ashrrev_i32_e32 v3, 31, v2
	v_lshlrev_b64 v[2:3], 2, v[2:3]
	v_and_b32_e32 v0, 1, v0
	v_subrev_u32_e32 v0, s1, v0
	s_waitcnt lgkmcnt(0)
	v_mov_b32_e32 v1, s9
	v_add_co_u32_e32 v4, vcc, s8, v2
	v_addc_co_u32_e32 v5, vcc, v1, v3, vcc
	global_load_dwordx2 v[4:5], v[4:5], off
	v_mov_b32_e32 v1, 0
	s_waitcnt vmcnt(0)
	v_subrev_u32_e32 v6, s1, v5
	v_add_u32_e32 v0, v4, v0
	v_cmp_lt_i32_e32 vcc, v0, v6
	s_and_saveexec_b64 s[6:7], vcc
	s_cbranch_execz .LBB6_5
; %bb.2:
	s_load_dwordx2 s[0:1], s[4:5], 0x8
	s_load_dwordx2 s[8:9], s[4:5], 0x20
	v_ashrrev_i32_e32 v1, 31, v0
	v_lshlrev_b64 v[4:5], 3, v[0:1]
	s_mov_b32 s12, 0
	s_waitcnt lgkmcnt(0)
	v_mov_b32_e32 v1, s1
	v_add_co_u32_e32 v4, vcc, s0, v4
	v_addc_co_u32_e32 v5, vcc, v1, v5, vcc
	s_mov_b64 s[4:5], 0
	v_mov_b32_e32 v1, 0
	s_mov_b32 s13, 0x38100000
.LBB6_3:                                ; =>This Inner Loop Header: Depth=1
	global_load_dwordx2 v[8:9], v[4:5], off
	v_add_co_u32_e32 v4, vcc, 16, v4
	v_add_u32_e32 v0, 2, v0
	v_addc_co_u32_e32 v5, vcc, 0, v5, vcc
	v_cmp_ge_i32_e32 vcc, v0, v6
	s_waitcnt vmcnt(0)
	v_xor_b32_e32 v7, 0x80000000, v9
	v_cmp_gt_f64_e64 s[0:1], 0, v[8:9]
	v_cndmask_b32_e64 v9, v9, v7, s[0:1]
	v_cndmask_b32_e64 v8, v8, v8, s[0:1]
	v_cmp_lt_f64_e64 s[0:1], s[8:9], v[8:9]
	v_cmp_lt_f64_e64 s[2:3], s[12:13], v[8:9]
	s_and_b64 s[0:1], s[0:1], s[2:3]
	s_or_b64 s[4:5], vcc, s[4:5]
	v_addc_co_u32_e64 v1, vcc, 0, v1, s[0:1]
	s_andn2_b64 exec, exec, s[4:5]
	s_cbranch_execnz .LBB6_3
; %bb.4:
	s_or_b64 exec, exec, s[4:5]
.LBB6_5:
	s_or_b64 exec, exec, s[6:7]
	v_mov_b32_dpp v0, v1 row_shr:1 row_mask:0xf bank_mask:0xf
	v_add_u32_e32 v0, v0, v1
	v_mbcnt_lo_u32_b32 v1, -1, 0
	v_mbcnt_hi_u32_b32 v1, -1, v1
	v_lshl_or_b32 v1, v1, 2, 4
	ds_bpermute_b32 v4, v1, v0
	v_mov_b32_e32 v1, s11
	v_add_co_u32_e32 v0, vcc, s10, v2
	v_addc_co_u32_e32 v1, vcc, v1, v3, vcc
	s_waitcnt lgkmcnt(0)
	global_store_dword v[0:1], v4, off
.LBB6_6:
	s_endpgm
	.section	.rodata,"a",@progbits
	.p2align	6, 0x0
	.amdhsa_kernel _ZN9rocsparseL19nnz_compress_kernelILi1024ELi512ELi2EdEEvi21rocsparse_index_base_PKT2_PKiPiS2_
		.amdhsa_group_segment_fixed_size 0
		.amdhsa_private_segment_fixed_size 0
		.amdhsa_kernarg_size 40
		.amdhsa_user_sgpr_count 6
		.amdhsa_user_sgpr_private_segment_buffer 1
		.amdhsa_user_sgpr_dispatch_ptr 0
		.amdhsa_user_sgpr_queue_ptr 0
		.amdhsa_user_sgpr_kernarg_segment_ptr 1
		.amdhsa_user_sgpr_dispatch_id 0
		.amdhsa_user_sgpr_flat_scratch_init 0
		.amdhsa_user_sgpr_kernarg_preload_length 0
		.amdhsa_user_sgpr_kernarg_preload_offset 0
		.amdhsa_user_sgpr_private_segment_size 0
		.amdhsa_uses_dynamic_stack 0
		.amdhsa_system_sgpr_private_segment_wavefront_offset 0
		.amdhsa_system_sgpr_workgroup_id_x 1
		.amdhsa_system_sgpr_workgroup_id_y 0
		.amdhsa_system_sgpr_workgroup_id_z 0
		.amdhsa_system_sgpr_workgroup_info 0
		.amdhsa_system_vgpr_workitem_id 0
		.amdhsa_next_free_vgpr 10
		.amdhsa_next_free_sgpr 14
		.amdhsa_accum_offset 12
		.amdhsa_reserve_vcc 1
		.amdhsa_reserve_flat_scratch 0
		.amdhsa_float_round_mode_32 0
		.amdhsa_float_round_mode_16_64 0
		.amdhsa_float_denorm_mode_32 3
		.amdhsa_float_denorm_mode_16_64 3
		.amdhsa_dx10_clamp 1
		.amdhsa_ieee_mode 1
		.amdhsa_fp16_overflow 0
		.amdhsa_tg_split 0
		.amdhsa_exception_fp_ieee_invalid_op 0
		.amdhsa_exception_fp_denorm_src 0
		.amdhsa_exception_fp_ieee_div_zero 0
		.amdhsa_exception_fp_ieee_overflow 0
		.amdhsa_exception_fp_ieee_underflow 0
		.amdhsa_exception_fp_ieee_inexact 0
		.amdhsa_exception_int_div_zero 0
	.end_amdhsa_kernel
	.section	.text._ZN9rocsparseL19nnz_compress_kernelILi1024ELi512ELi2EdEEvi21rocsparse_index_base_PKT2_PKiPiS2_,"axG",@progbits,_ZN9rocsparseL19nnz_compress_kernelILi1024ELi512ELi2EdEEvi21rocsparse_index_base_PKT2_PKiPiS2_,comdat
.Lfunc_end6:
	.size	_ZN9rocsparseL19nnz_compress_kernelILi1024ELi512ELi2EdEEvi21rocsparse_index_base_PKT2_PKiPiS2_, .Lfunc_end6-_ZN9rocsparseL19nnz_compress_kernelILi1024ELi512ELi2EdEEvi21rocsparse_index_base_PKT2_PKiPiS2_
                                        ; -- End function
	.section	.AMDGPU.csdata,"",@progbits
; Kernel info:
; codeLenInByte = 360
; NumSgprs: 18
; NumVgprs: 10
; NumAgprs: 0
; TotalNumVgprs: 10
; ScratchSize: 0
; MemoryBound: 0
; FloatMode: 240
; IeeeMode: 1
; LDSByteSize: 0 bytes/workgroup (compile time only)
; SGPRBlocks: 2
; VGPRBlocks: 1
; NumSGPRsForWavesPerEU: 18
; NumVGPRsForWavesPerEU: 10
; AccumOffset: 12
; Occupancy: 8
; WaveLimiterHint : 0
; COMPUTE_PGM_RSRC2:SCRATCH_EN: 0
; COMPUTE_PGM_RSRC2:USER_SGPR: 6
; COMPUTE_PGM_RSRC2:TRAP_HANDLER: 0
; COMPUTE_PGM_RSRC2:TGID_X_EN: 1
; COMPUTE_PGM_RSRC2:TGID_Y_EN: 0
; COMPUTE_PGM_RSRC2:TGID_Z_EN: 0
; COMPUTE_PGM_RSRC2:TIDIG_COMP_CNT: 0
; COMPUTE_PGM_RSRC3_GFX90A:ACCUM_OFFSET: 2
; COMPUTE_PGM_RSRC3_GFX90A:TG_SPLIT: 0
	.section	.text._ZN9rocsparseL19nnz_compress_kernelILi1024ELi256ELi4EdEEvi21rocsparse_index_base_PKT2_PKiPiS2_,"axG",@progbits,_ZN9rocsparseL19nnz_compress_kernelILi1024ELi256ELi4EdEEvi21rocsparse_index_base_PKT2_PKiPiS2_,comdat
	.globl	_ZN9rocsparseL19nnz_compress_kernelILi1024ELi256ELi4EdEEvi21rocsparse_index_base_PKT2_PKiPiS2_ ; -- Begin function _ZN9rocsparseL19nnz_compress_kernelILi1024ELi256ELi4EdEEvi21rocsparse_index_base_PKT2_PKiPiS2_
	.p2align	8
	.type	_ZN9rocsparseL19nnz_compress_kernelILi1024ELi256ELi4EdEEvi21rocsparse_index_base_PKT2_PKiPiS2_,@function
_ZN9rocsparseL19nnz_compress_kernelILi1024ELi256ELi4EdEEvi21rocsparse_index_base_PKT2_PKiPiS2_: ; @_ZN9rocsparseL19nnz_compress_kernelILi1024ELi256ELi4EdEEvi21rocsparse_index_base_PKT2_PKiPiS2_
; %bb.0:
	s_load_dwordx2 s[0:1], s[4:5], 0x0
	v_lshrrev_b32_e32 v1, 2, v0
	v_lshl_or_b32 v2, s6, 8, v1
	s_waitcnt lgkmcnt(0)
	v_cmp_gt_i32_e32 vcc, s0, v2
	s_and_saveexec_b64 s[2:3], vcc
	s_cbranch_execz .LBB7_6
; %bb.1:
	s_load_dwordx4 s[8:11], s[4:5], 0x10
	v_ashrrev_i32_e32 v3, 31, v2
	v_lshlrev_b64 v[2:3], 2, v[2:3]
	v_and_b32_e32 v0, 3, v0
	v_subrev_u32_e32 v0, s1, v0
	s_waitcnt lgkmcnt(0)
	v_mov_b32_e32 v1, s9
	v_add_co_u32_e32 v4, vcc, s8, v2
	v_addc_co_u32_e32 v5, vcc, v1, v3, vcc
	global_load_dwordx2 v[4:5], v[4:5], off
	v_mov_b32_e32 v1, 0
	s_waitcnt vmcnt(0)
	v_subrev_u32_e32 v6, s1, v5
	v_add_u32_e32 v0, v4, v0
	v_cmp_lt_i32_e32 vcc, v0, v6
	s_and_saveexec_b64 s[6:7], vcc
	s_cbranch_execz .LBB7_5
; %bb.2:
	s_load_dwordx2 s[0:1], s[4:5], 0x8
	s_load_dwordx2 s[8:9], s[4:5], 0x20
	v_ashrrev_i32_e32 v1, 31, v0
	v_lshlrev_b64 v[4:5], 3, v[0:1]
	s_mov_b32 s12, 0
	s_waitcnt lgkmcnt(0)
	v_mov_b32_e32 v1, s1
	v_add_co_u32_e32 v4, vcc, s0, v4
	v_addc_co_u32_e32 v5, vcc, v1, v5, vcc
	s_mov_b64 s[4:5], 0
	v_mov_b32_e32 v1, 0
	s_mov_b32 s13, 0x38100000
.LBB7_3:                                ; =>This Inner Loop Header: Depth=1
	global_load_dwordx2 v[8:9], v[4:5], off
	v_add_co_u32_e32 v4, vcc, 32, v4
	v_add_u32_e32 v0, 4, v0
	v_addc_co_u32_e32 v5, vcc, 0, v5, vcc
	v_cmp_ge_i32_e32 vcc, v0, v6
	s_waitcnt vmcnt(0)
	v_xor_b32_e32 v7, 0x80000000, v9
	v_cmp_gt_f64_e64 s[0:1], 0, v[8:9]
	v_cndmask_b32_e64 v9, v9, v7, s[0:1]
	v_cndmask_b32_e64 v8, v8, v8, s[0:1]
	v_cmp_lt_f64_e64 s[0:1], s[8:9], v[8:9]
	v_cmp_lt_f64_e64 s[2:3], s[12:13], v[8:9]
	s_and_b64 s[0:1], s[0:1], s[2:3]
	s_or_b64 s[4:5], vcc, s[4:5]
	v_addc_co_u32_e64 v1, vcc, 0, v1, s[0:1]
	s_andn2_b64 exec, exec, s[4:5]
	s_cbranch_execnz .LBB7_3
; %bb.4:
	s_or_b64 exec, exec, s[4:5]
.LBB7_5:
	s_or_b64 exec, exec, s[6:7]
	v_mov_b32_dpp v0, v1 row_shr:1 row_mask:0xf bank_mask:0xf
	v_add_u32_e32 v0, v0, v1
	s_nop 1
	v_mov_b32_dpp v1, v0 row_shr:2 row_mask:0xf bank_mask:0xf
	v_add_u32_e32 v0, v0, v1
	v_mbcnt_lo_u32_b32 v1, -1, 0
	v_mbcnt_hi_u32_b32 v1, -1, v1
	v_lshl_or_b32 v1, v1, 2, 12
	ds_bpermute_b32 v4, v1, v0
	v_mov_b32_e32 v1, s11
	v_add_co_u32_e32 v0, vcc, s10, v2
	v_addc_co_u32_e32 v1, vcc, v1, v3, vcc
	s_waitcnt lgkmcnt(0)
	global_store_dword v[0:1], v4, off
.LBB7_6:
	s_endpgm
	.section	.rodata,"a",@progbits
	.p2align	6, 0x0
	.amdhsa_kernel _ZN9rocsparseL19nnz_compress_kernelILi1024ELi256ELi4EdEEvi21rocsparse_index_base_PKT2_PKiPiS2_
		.amdhsa_group_segment_fixed_size 0
		.amdhsa_private_segment_fixed_size 0
		.amdhsa_kernarg_size 40
		.amdhsa_user_sgpr_count 6
		.amdhsa_user_sgpr_private_segment_buffer 1
		.amdhsa_user_sgpr_dispatch_ptr 0
		.amdhsa_user_sgpr_queue_ptr 0
		.amdhsa_user_sgpr_kernarg_segment_ptr 1
		.amdhsa_user_sgpr_dispatch_id 0
		.amdhsa_user_sgpr_flat_scratch_init 0
		.amdhsa_user_sgpr_kernarg_preload_length 0
		.amdhsa_user_sgpr_kernarg_preload_offset 0
		.amdhsa_user_sgpr_private_segment_size 0
		.amdhsa_uses_dynamic_stack 0
		.amdhsa_system_sgpr_private_segment_wavefront_offset 0
		.amdhsa_system_sgpr_workgroup_id_x 1
		.amdhsa_system_sgpr_workgroup_id_y 0
		.amdhsa_system_sgpr_workgroup_id_z 0
		.amdhsa_system_sgpr_workgroup_info 0
		.amdhsa_system_vgpr_workitem_id 0
		.amdhsa_next_free_vgpr 10
		.amdhsa_next_free_sgpr 14
		.amdhsa_accum_offset 12
		.amdhsa_reserve_vcc 1
		.amdhsa_reserve_flat_scratch 0
		.amdhsa_float_round_mode_32 0
		.amdhsa_float_round_mode_16_64 0
		.amdhsa_float_denorm_mode_32 3
		.amdhsa_float_denorm_mode_16_64 3
		.amdhsa_dx10_clamp 1
		.amdhsa_ieee_mode 1
		.amdhsa_fp16_overflow 0
		.amdhsa_tg_split 0
		.amdhsa_exception_fp_ieee_invalid_op 0
		.amdhsa_exception_fp_denorm_src 0
		.amdhsa_exception_fp_ieee_div_zero 0
		.amdhsa_exception_fp_ieee_overflow 0
		.amdhsa_exception_fp_ieee_underflow 0
		.amdhsa_exception_fp_ieee_inexact 0
		.amdhsa_exception_int_div_zero 0
	.end_amdhsa_kernel
	.section	.text._ZN9rocsparseL19nnz_compress_kernelILi1024ELi256ELi4EdEEvi21rocsparse_index_base_PKT2_PKiPiS2_,"axG",@progbits,_ZN9rocsparseL19nnz_compress_kernelILi1024ELi256ELi4EdEEvi21rocsparse_index_base_PKT2_PKiPiS2_,comdat
.Lfunc_end7:
	.size	_ZN9rocsparseL19nnz_compress_kernelILi1024ELi256ELi4EdEEvi21rocsparse_index_base_PKT2_PKiPiS2_, .Lfunc_end7-_ZN9rocsparseL19nnz_compress_kernelILi1024ELi256ELi4EdEEvi21rocsparse_index_base_PKT2_PKiPiS2_
                                        ; -- End function
	.section	.AMDGPU.csdata,"",@progbits
; Kernel info:
; codeLenInByte = 376
; NumSgprs: 18
; NumVgprs: 10
; NumAgprs: 0
; TotalNumVgprs: 10
; ScratchSize: 0
; MemoryBound: 0
; FloatMode: 240
; IeeeMode: 1
; LDSByteSize: 0 bytes/workgroup (compile time only)
; SGPRBlocks: 2
; VGPRBlocks: 1
; NumSGPRsForWavesPerEU: 18
; NumVGPRsForWavesPerEU: 10
; AccumOffset: 12
; Occupancy: 8
; WaveLimiterHint : 0
; COMPUTE_PGM_RSRC2:SCRATCH_EN: 0
; COMPUTE_PGM_RSRC2:USER_SGPR: 6
; COMPUTE_PGM_RSRC2:TRAP_HANDLER: 0
; COMPUTE_PGM_RSRC2:TGID_X_EN: 1
; COMPUTE_PGM_RSRC2:TGID_Y_EN: 0
; COMPUTE_PGM_RSRC2:TGID_Z_EN: 0
; COMPUTE_PGM_RSRC2:TIDIG_COMP_CNT: 0
; COMPUTE_PGM_RSRC3_GFX90A:ACCUM_OFFSET: 2
; COMPUTE_PGM_RSRC3_GFX90A:TG_SPLIT: 0
	.section	.text._ZN9rocsparseL19nnz_compress_kernelILi1024ELi128ELi8EdEEvi21rocsparse_index_base_PKT2_PKiPiS2_,"axG",@progbits,_ZN9rocsparseL19nnz_compress_kernelILi1024ELi128ELi8EdEEvi21rocsparse_index_base_PKT2_PKiPiS2_,comdat
	.globl	_ZN9rocsparseL19nnz_compress_kernelILi1024ELi128ELi8EdEEvi21rocsparse_index_base_PKT2_PKiPiS2_ ; -- Begin function _ZN9rocsparseL19nnz_compress_kernelILi1024ELi128ELi8EdEEvi21rocsparse_index_base_PKT2_PKiPiS2_
	.p2align	8
	.type	_ZN9rocsparseL19nnz_compress_kernelILi1024ELi128ELi8EdEEvi21rocsparse_index_base_PKT2_PKiPiS2_,@function
_ZN9rocsparseL19nnz_compress_kernelILi1024ELi128ELi8EdEEvi21rocsparse_index_base_PKT2_PKiPiS2_: ; @_ZN9rocsparseL19nnz_compress_kernelILi1024ELi128ELi8EdEEvi21rocsparse_index_base_PKT2_PKiPiS2_
; %bb.0:
	s_load_dwordx2 s[0:1], s[4:5], 0x0
	v_lshrrev_b32_e32 v1, 3, v0
	v_lshl_or_b32 v2, s6, 7, v1
	s_waitcnt lgkmcnt(0)
	v_cmp_gt_i32_e32 vcc, s0, v2
	s_and_saveexec_b64 s[2:3], vcc
	s_cbranch_execz .LBB8_6
; %bb.1:
	s_load_dwordx4 s[8:11], s[4:5], 0x10
	v_ashrrev_i32_e32 v3, 31, v2
	v_lshlrev_b64 v[2:3], 2, v[2:3]
	v_and_b32_e32 v0, 7, v0
	v_subrev_u32_e32 v0, s1, v0
	s_waitcnt lgkmcnt(0)
	v_mov_b32_e32 v1, s9
	v_add_co_u32_e32 v4, vcc, s8, v2
	v_addc_co_u32_e32 v5, vcc, v1, v3, vcc
	global_load_dwordx2 v[4:5], v[4:5], off
	v_mov_b32_e32 v1, 0
	s_waitcnt vmcnt(0)
	v_subrev_u32_e32 v6, s1, v5
	v_add_u32_e32 v0, v4, v0
	v_cmp_lt_i32_e32 vcc, v0, v6
	s_and_saveexec_b64 s[6:7], vcc
	s_cbranch_execz .LBB8_5
; %bb.2:
	s_load_dwordx2 s[0:1], s[4:5], 0x8
	s_load_dwordx2 s[8:9], s[4:5], 0x20
	v_ashrrev_i32_e32 v1, 31, v0
	v_lshlrev_b64 v[4:5], 3, v[0:1]
	s_mov_b32 s12, 0
	s_waitcnt lgkmcnt(0)
	v_mov_b32_e32 v1, s1
	v_add_co_u32_e32 v4, vcc, s0, v4
	v_addc_co_u32_e32 v5, vcc, v1, v5, vcc
	s_mov_b64 s[4:5], 0
	v_mov_b32_e32 v1, 0
	s_mov_b32 s13, 0x38100000
.LBB8_3:                                ; =>This Inner Loop Header: Depth=1
	global_load_dwordx2 v[8:9], v[4:5], off
	v_add_co_u32_e32 v4, vcc, 64, v4
	v_add_u32_e32 v0, 8, v0
	v_addc_co_u32_e32 v5, vcc, 0, v5, vcc
	v_cmp_ge_i32_e32 vcc, v0, v6
	s_waitcnt vmcnt(0)
	v_xor_b32_e32 v7, 0x80000000, v9
	v_cmp_gt_f64_e64 s[0:1], 0, v[8:9]
	v_cndmask_b32_e64 v9, v9, v7, s[0:1]
	v_cndmask_b32_e64 v8, v8, v8, s[0:1]
	v_cmp_lt_f64_e64 s[0:1], s[8:9], v[8:9]
	v_cmp_lt_f64_e64 s[2:3], s[12:13], v[8:9]
	s_and_b64 s[0:1], s[0:1], s[2:3]
	s_or_b64 s[4:5], vcc, s[4:5]
	v_addc_co_u32_e64 v1, vcc, 0, v1, s[0:1]
	s_andn2_b64 exec, exec, s[4:5]
	s_cbranch_execnz .LBB8_3
; %bb.4:
	s_or_b64 exec, exec, s[4:5]
.LBB8_5:
	s_or_b64 exec, exec, s[6:7]
	v_mov_b32_dpp v0, v1 row_shr:1 row_mask:0xf bank_mask:0xf
	v_add_u32_e32 v0, v0, v1
	s_nop 1
	v_mov_b32_dpp v1, v0 row_shr:2 row_mask:0xf bank_mask:0xf
	v_add_u32_e32 v0, v0, v1
	s_nop 1
	v_mov_b32_dpp v1, v0 row_shr:4 row_mask:0xf bank_mask:0xe
	v_add_u32_e32 v0, v0, v1
	v_mbcnt_lo_u32_b32 v1, -1, 0
	v_mbcnt_hi_u32_b32 v1, -1, v1
	v_lshl_or_b32 v1, v1, 2, 28
	ds_bpermute_b32 v4, v1, v0
	v_mov_b32_e32 v1, s11
	v_add_co_u32_e32 v0, vcc, s10, v2
	v_addc_co_u32_e32 v1, vcc, v1, v3, vcc
	s_waitcnt lgkmcnt(0)
	global_store_dword v[0:1], v4, off
.LBB8_6:
	s_endpgm
	.section	.rodata,"a",@progbits
	.p2align	6, 0x0
	.amdhsa_kernel _ZN9rocsparseL19nnz_compress_kernelILi1024ELi128ELi8EdEEvi21rocsparse_index_base_PKT2_PKiPiS2_
		.amdhsa_group_segment_fixed_size 0
		.amdhsa_private_segment_fixed_size 0
		.amdhsa_kernarg_size 40
		.amdhsa_user_sgpr_count 6
		.amdhsa_user_sgpr_private_segment_buffer 1
		.amdhsa_user_sgpr_dispatch_ptr 0
		.amdhsa_user_sgpr_queue_ptr 0
		.amdhsa_user_sgpr_kernarg_segment_ptr 1
		.amdhsa_user_sgpr_dispatch_id 0
		.amdhsa_user_sgpr_flat_scratch_init 0
		.amdhsa_user_sgpr_kernarg_preload_length 0
		.amdhsa_user_sgpr_kernarg_preload_offset 0
		.amdhsa_user_sgpr_private_segment_size 0
		.amdhsa_uses_dynamic_stack 0
		.amdhsa_system_sgpr_private_segment_wavefront_offset 0
		.amdhsa_system_sgpr_workgroup_id_x 1
		.amdhsa_system_sgpr_workgroup_id_y 0
		.amdhsa_system_sgpr_workgroup_id_z 0
		.amdhsa_system_sgpr_workgroup_info 0
		.amdhsa_system_vgpr_workitem_id 0
		.amdhsa_next_free_vgpr 10
		.amdhsa_next_free_sgpr 14
		.amdhsa_accum_offset 12
		.amdhsa_reserve_vcc 1
		.amdhsa_reserve_flat_scratch 0
		.amdhsa_float_round_mode_32 0
		.amdhsa_float_round_mode_16_64 0
		.amdhsa_float_denorm_mode_32 3
		.amdhsa_float_denorm_mode_16_64 3
		.amdhsa_dx10_clamp 1
		.amdhsa_ieee_mode 1
		.amdhsa_fp16_overflow 0
		.amdhsa_tg_split 0
		.amdhsa_exception_fp_ieee_invalid_op 0
		.amdhsa_exception_fp_denorm_src 0
		.amdhsa_exception_fp_ieee_div_zero 0
		.amdhsa_exception_fp_ieee_overflow 0
		.amdhsa_exception_fp_ieee_underflow 0
		.amdhsa_exception_fp_ieee_inexact 0
		.amdhsa_exception_int_div_zero 0
	.end_amdhsa_kernel
	.section	.text._ZN9rocsparseL19nnz_compress_kernelILi1024ELi128ELi8EdEEvi21rocsparse_index_base_PKT2_PKiPiS2_,"axG",@progbits,_ZN9rocsparseL19nnz_compress_kernelILi1024ELi128ELi8EdEEvi21rocsparse_index_base_PKT2_PKiPiS2_,comdat
.Lfunc_end8:
	.size	_ZN9rocsparseL19nnz_compress_kernelILi1024ELi128ELi8EdEEvi21rocsparse_index_base_PKT2_PKiPiS2_, .Lfunc_end8-_ZN9rocsparseL19nnz_compress_kernelILi1024ELi128ELi8EdEEvi21rocsparse_index_base_PKT2_PKiPiS2_
                                        ; -- End function
	.section	.AMDGPU.csdata,"",@progbits
; Kernel info:
; codeLenInByte = 392
; NumSgprs: 18
; NumVgprs: 10
; NumAgprs: 0
; TotalNumVgprs: 10
; ScratchSize: 0
; MemoryBound: 0
; FloatMode: 240
; IeeeMode: 1
; LDSByteSize: 0 bytes/workgroup (compile time only)
; SGPRBlocks: 2
; VGPRBlocks: 1
; NumSGPRsForWavesPerEU: 18
; NumVGPRsForWavesPerEU: 10
; AccumOffset: 12
; Occupancy: 8
; WaveLimiterHint : 0
; COMPUTE_PGM_RSRC2:SCRATCH_EN: 0
; COMPUTE_PGM_RSRC2:USER_SGPR: 6
; COMPUTE_PGM_RSRC2:TRAP_HANDLER: 0
; COMPUTE_PGM_RSRC2:TGID_X_EN: 1
; COMPUTE_PGM_RSRC2:TGID_Y_EN: 0
; COMPUTE_PGM_RSRC2:TGID_Z_EN: 0
; COMPUTE_PGM_RSRC2:TIDIG_COMP_CNT: 0
; COMPUTE_PGM_RSRC3_GFX90A:ACCUM_OFFSET: 2
; COMPUTE_PGM_RSRC3_GFX90A:TG_SPLIT: 0
	.section	.text._ZN9rocsparseL19nnz_compress_kernelILi1024ELi64ELi16EdEEvi21rocsparse_index_base_PKT2_PKiPiS2_,"axG",@progbits,_ZN9rocsparseL19nnz_compress_kernelILi1024ELi64ELi16EdEEvi21rocsparse_index_base_PKT2_PKiPiS2_,comdat
	.globl	_ZN9rocsparseL19nnz_compress_kernelILi1024ELi64ELi16EdEEvi21rocsparse_index_base_PKT2_PKiPiS2_ ; -- Begin function _ZN9rocsparseL19nnz_compress_kernelILi1024ELi64ELi16EdEEvi21rocsparse_index_base_PKT2_PKiPiS2_
	.p2align	8
	.type	_ZN9rocsparseL19nnz_compress_kernelILi1024ELi64ELi16EdEEvi21rocsparse_index_base_PKT2_PKiPiS2_,@function
_ZN9rocsparseL19nnz_compress_kernelILi1024ELi64ELi16EdEEvi21rocsparse_index_base_PKT2_PKiPiS2_: ; @_ZN9rocsparseL19nnz_compress_kernelILi1024ELi64ELi16EdEEvi21rocsparse_index_base_PKT2_PKiPiS2_
; %bb.0:
	s_load_dwordx2 s[0:1], s[4:5], 0x0
	v_lshrrev_b32_e32 v1, 4, v0
	v_lshl_or_b32 v2, s6, 6, v1
	s_waitcnt lgkmcnt(0)
	v_cmp_gt_i32_e32 vcc, s0, v2
	s_and_saveexec_b64 s[2:3], vcc
	s_cbranch_execz .LBB9_6
; %bb.1:
	s_load_dwordx4 s[8:11], s[4:5], 0x10
	v_ashrrev_i32_e32 v3, 31, v2
	v_lshlrev_b64 v[2:3], 2, v[2:3]
	v_and_b32_e32 v0, 15, v0
	v_subrev_u32_e32 v0, s1, v0
	s_waitcnt lgkmcnt(0)
	v_mov_b32_e32 v1, s9
	v_add_co_u32_e32 v4, vcc, s8, v2
	v_addc_co_u32_e32 v5, vcc, v1, v3, vcc
	global_load_dwordx2 v[4:5], v[4:5], off
	v_mov_b32_e32 v1, 0
	s_waitcnt vmcnt(0)
	v_subrev_u32_e32 v6, s1, v5
	v_add_u32_e32 v0, v4, v0
	v_cmp_lt_i32_e32 vcc, v0, v6
	s_and_saveexec_b64 s[6:7], vcc
	s_cbranch_execz .LBB9_5
; %bb.2:
	s_load_dwordx2 s[0:1], s[4:5], 0x8
	s_load_dwordx2 s[8:9], s[4:5], 0x20
	v_ashrrev_i32_e32 v1, 31, v0
	v_lshlrev_b64 v[4:5], 3, v[0:1]
	s_mov_b32 s12, 0
	s_waitcnt lgkmcnt(0)
	v_mov_b32_e32 v1, s1
	v_add_co_u32_e32 v4, vcc, s0, v4
	v_addc_co_u32_e32 v5, vcc, v1, v5, vcc
	s_mov_b64 s[4:5], 0
	v_mov_b32_e32 v1, 0
	s_mov_b32 s13, 0x38100000
.LBB9_3:                                ; =>This Inner Loop Header: Depth=1
	global_load_dwordx2 v[8:9], v[4:5], off
	v_add_co_u32_e32 v4, vcc, 0x80, v4
	v_add_u32_e32 v0, 16, v0
	v_addc_co_u32_e32 v5, vcc, 0, v5, vcc
	v_cmp_ge_i32_e32 vcc, v0, v6
	s_waitcnt vmcnt(0)
	v_xor_b32_e32 v7, 0x80000000, v9
	v_cmp_gt_f64_e64 s[0:1], 0, v[8:9]
	v_cndmask_b32_e64 v9, v9, v7, s[0:1]
	v_cndmask_b32_e64 v8, v8, v8, s[0:1]
	v_cmp_lt_f64_e64 s[0:1], s[8:9], v[8:9]
	v_cmp_lt_f64_e64 s[2:3], s[12:13], v[8:9]
	s_and_b64 s[0:1], s[0:1], s[2:3]
	s_or_b64 s[4:5], vcc, s[4:5]
	v_addc_co_u32_e64 v1, vcc, 0, v1, s[0:1]
	s_andn2_b64 exec, exec, s[4:5]
	s_cbranch_execnz .LBB9_3
; %bb.4:
	s_or_b64 exec, exec, s[4:5]
.LBB9_5:
	s_or_b64 exec, exec, s[6:7]
	v_mov_b32_dpp v0, v1 row_shr:1 row_mask:0xf bank_mask:0xf
	v_add_u32_e32 v0, v0, v1
	s_nop 1
	v_mov_b32_dpp v1, v0 row_shr:2 row_mask:0xf bank_mask:0xf
	v_add_u32_e32 v0, v0, v1
	s_nop 1
	;; [unrolled: 3-line block ×3, first 2 shown]
	v_mov_b32_dpp v1, v0 row_shr:8 row_mask:0xf bank_mask:0xc
	v_add_u32_e32 v0, v0, v1
	v_mbcnt_lo_u32_b32 v1, -1, 0
	v_mbcnt_hi_u32_b32 v1, -1, v1
	v_lshl_or_b32 v1, v1, 2, 60
	ds_bpermute_b32 v4, v1, v0
	v_mov_b32_e32 v1, s11
	v_add_co_u32_e32 v0, vcc, s10, v2
	v_addc_co_u32_e32 v1, vcc, v1, v3, vcc
	s_waitcnt lgkmcnt(0)
	global_store_dword v[0:1], v4, off
.LBB9_6:
	s_endpgm
	.section	.rodata,"a",@progbits
	.p2align	6, 0x0
	.amdhsa_kernel _ZN9rocsparseL19nnz_compress_kernelILi1024ELi64ELi16EdEEvi21rocsparse_index_base_PKT2_PKiPiS2_
		.amdhsa_group_segment_fixed_size 0
		.amdhsa_private_segment_fixed_size 0
		.amdhsa_kernarg_size 40
		.amdhsa_user_sgpr_count 6
		.amdhsa_user_sgpr_private_segment_buffer 1
		.amdhsa_user_sgpr_dispatch_ptr 0
		.amdhsa_user_sgpr_queue_ptr 0
		.amdhsa_user_sgpr_kernarg_segment_ptr 1
		.amdhsa_user_sgpr_dispatch_id 0
		.amdhsa_user_sgpr_flat_scratch_init 0
		.amdhsa_user_sgpr_kernarg_preload_length 0
		.amdhsa_user_sgpr_kernarg_preload_offset 0
		.amdhsa_user_sgpr_private_segment_size 0
		.amdhsa_uses_dynamic_stack 0
		.amdhsa_system_sgpr_private_segment_wavefront_offset 0
		.amdhsa_system_sgpr_workgroup_id_x 1
		.amdhsa_system_sgpr_workgroup_id_y 0
		.amdhsa_system_sgpr_workgroup_id_z 0
		.amdhsa_system_sgpr_workgroup_info 0
		.amdhsa_system_vgpr_workitem_id 0
		.amdhsa_next_free_vgpr 10
		.amdhsa_next_free_sgpr 14
		.amdhsa_accum_offset 12
		.amdhsa_reserve_vcc 1
		.amdhsa_reserve_flat_scratch 0
		.amdhsa_float_round_mode_32 0
		.amdhsa_float_round_mode_16_64 0
		.amdhsa_float_denorm_mode_32 3
		.amdhsa_float_denorm_mode_16_64 3
		.amdhsa_dx10_clamp 1
		.amdhsa_ieee_mode 1
		.amdhsa_fp16_overflow 0
		.amdhsa_tg_split 0
		.amdhsa_exception_fp_ieee_invalid_op 0
		.amdhsa_exception_fp_denorm_src 0
		.amdhsa_exception_fp_ieee_div_zero 0
		.amdhsa_exception_fp_ieee_overflow 0
		.amdhsa_exception_fp_ieee_underflow 0
		.amdhsa_exception_fp_ieee_inexact 0
		.amdhsa_exception_int_div_zero 0
	.end_amdhsa_kernel
	.section	.text._ZN9rocsparseL19nnz_compress_kernelILi1024ELi64ELi16EdEEvi21rocsparse_index_base_PKT2_PKiPiS2_,"axG",@progbits,_ZN9rocsparseL19nnz_compress_kernelILi1024ELi64ELi16EdEEvi21rocsparse_index_base_PKT2_PKiPiS2_,comdat
.Lfunc_end9:
	.size	_ZN9rocsparseL19nnz_compress_kernelILi1024ELi64ELi16EdEEvi21rocsparse_index_base_PKT2_PKiPiS2_, .Lfunc_end9-_ZN9rocsparseL19nnz_compress_kernelILi1024ELi64ELi16EdEEvi21rocsparse_index_base_PKT2_PKiPiS2_
                                        ; -- End function
	.section	.AMDGPU.csdata,"",@progbits
; Kernel info:
; codeLenInByte = 412
; NumSgprs: 18
; NumVgprs: 10
; NumAgprs: 0
; TotalNumVgprs: 10
; ScratchSize: 0
; MemoryBound: 0
; FloatMode: 240
; IeeeMode: 1
; LDSByteSize: 0 bytes/workgroup (compile time only)
; SGPRBlocks: 2
; VGPRBlocks: 1
; NumSGPRsForWavesPerEU: 18
; NumVGPRsForWavesPerEU: 10
; AccumOffset: 12
; Occupancy: 8
; WaveLimiterHint : 0
; COMPUTE_PGM_RSRC2:SCRATCH_EN: 0
; COMPUTE_PGM_RSRC2:USER_SGPR: 6
; COMPUTE_PGM_RSRC2:TRAP_HANDLER: 0
; COMPUTE_PGM_RSRC2:TGID_X_EN: 1
; COMPUTE_PGM_RSRC2:TGID_Y_EN: 0
; COMPUTE_PGM_RSRC2:TGID_Z_EN: 0
; COMPUTE_PGM_RSRC2:TIDIG_COMP_CNT: 0
; COMPUTE_PGM_RSRC3_GFX90A:ACCUM_OFFSET: 2
; COMPUTE_PGM_RSRC3_GFX90A:TG_SPLIT: 0
	.section	.text._ZN9rocsparseL19nnz_compress_kernelILi1024ELi32ELi32EdEEvi21rocsparse_index_base_PKT2_PKiPiS2_,"axG",@progbits,_ZN9rocsparseL19nnz_compress_kernelILi1024ELi32ELi32EdEEvi21rocsparse_index_base_PKT2_PKiPiS2_,comdat
	.globl	_ZN9rocsparseL19nnz_compress_kernelILi1024ELi32ELi32EdEEvi21rocsparse_index_base_PKT2_PKiPiS2_ ; -- Begin function _ZN9rocsparseL19nnz_compress_kernelILi1024ELi32ELi32EdEEvi21rocsparse_index_base_PKT2_PKiPiS2_
	.p2align	8
	.type	_ZN9rocsparseL19nnz_compress_kernelILi1024ELi32ELi32EdEEvi21rocsparse_index_base_PKT2_PKiPiS2_,@function
_ZN9rocsparseL19nnz_compress_kernelILi1024ELi32ELi32EdEEvi21rocsparse_index_base_PKT2_PKiPiS2_: ; @_ZN9rocsparseL19nnz_compress_kernelILi1024ELi32ELi32EdEEvi21rocsparse_index_base_PKT2_PKiPiS2_
; %bb.0:
	s_load_dwordx2 s[0:1], s[4:5], 0x0
	v_lshrrev_b32_e32 v1, 5, v0
	v_lshl_or_b32 v2, s6, 5, v1
	s_waitcnt lgkmcnt(0)
	v_cmp_gt_i32_e32 vcc, s0, v2
	s_and_saveexec_b64 s[2:3], vcc
	s_cbranch_execz .LBB10_6
; %bb.1:
	s_load_dwordx4 s[8:11], s[4:5], 0x10
	v_ashrrev_i32_e32 v3, 31, v2
	v_lshlrev_b64 v[2:3], 2, v[2:3]
	v_and_b32_e32 v0, 31, v0
	v_subrev_u32_e32 v0, s1, v0
	s_waitcnt lgkmcnt(0)
	v_mov_b32_e32 v1, s9
	v_add_co_u32_e32 v4, vcc, s8, v2
	v_addc_co_u32_e32 v5, vcc, v1, v3, vcc
	global_load_dwordx2 v[4:5], v[4:5], off
	v_mov_b32_e32 v1, 0
	s_waitcnt vmcnt(0)
	v_subrev_u32_e32 v6, s1, v5
	v_add_u32_e32 v0, v4, v0
	v_cmp_lt_i32_e32 vcc, v0, v6
	s_and_saveexec_b64 s[6:7], vcc
	s_cbranch_execz .LBB10_5
; %bb.2:
	s_load_dwordx2 s[0:1], s[4:5], 0x8
	s_load_dwordx2 s[8:9], s[4:5], 0x20
	v_ashrrev_i32_e32 v1, 31, v0
	v_lshlrev_b64 v[4:5], 3, v[0:1]
	s_mov_b32 s12, 0
	s_waitcnt lgkmcnt(0)
	v_mov_b32_e32 v1, s1
	v_add_co_u32_e32 v4, vcc, s0, v4
	v_addc_co_u32_e32 v5, vcc, v1, v5, vcc
	s_mov_b64 s[4:5], 0
	v_mov_b32_e32 v1, 0
	s_mov_b32 s13, 0x38100000
.LBB10_3:                               ; =>This Inner Loop Header: Depth=1
	global_load_dwordx2 v[8:9], v[4:5], off
	v_add_co_u32_e32 v4, vcc, 0x100, v4
	v_add_u32_e32 v0, 32, v0
	v_addc_co_u32_e32 v5, vcc, 0, v5, vcc
	v_cmp_ge_i32_e32 vcc, v0, v6
	s_waitcnt vmcnt(0)
	v_xor_b32_e32 v7, 0x80000000, v9
	v_cmp_gt_f64_e64 s[0:1], 0, v[8:9]
	v_cndmask_b32_e64 v9, v9, v7, s[0:1]
	v_cndmask_b32_e64 v8, v8, v8, s[0:1]
	v_cmp_lt_f64_e64 s[0:1], s[8:9], v[8:9]
	v_cmp_lt_f64_e64 s[2:3], s[12:13], v[8:9]
	s_and_b64 s[0:1], s[0:1], s[2:3]
	s_or_b64 s[4:5], vcc, s[4:5]
	v_addc_co_u32_e64 v1, vcc, 0, v1, s[0:1]
	s_andn2_b64 exec, exec, s[4:5]
	s_cbranch_execnz .LBB10_3
; %bb.4:
	s_or_b64 exec, exec, s[4:5]
.LBB10_5:
	s_or_b64 exec, exec, s[6:7]
	v_mov_b32_dpp v0, v1 row_shr:1 row_mask:0xf bank_mask:0xf
	v_add_u32_e32 v0, v0, v1
	v_mov_b32_e32 v4, 0x7c
	s_nop 0
	v_mov_b32_dpp v1, v0 row_shr:2 row_mask:0xf bank_mask:0xf
	v_add_u32_e32 v0, v0, v1
	s_nop 1
	v_mov_b32_dpp v1, v0 row_shr:4 row_mask:0xf bank_mask:0xe
	v_add_u32_e32 v0, v0, v1
	;; [unrolled: 3-line block ×3, first 2 shown]
	s_nop 1
	v_mov_b32_dpp v1, v0 row_bcast:15 row_mask:0xa bank_mask:0xf
	v_add_u32_e32 v0, v0, v1
	v_mbcnt_lo_u32_b32 v1, -1, 0
	v_mbcnt_hi_u32_b32 v1, -1, v1
	v_lshl_or_b32 v1, v1, 2, v4
	ds_bpermute_b32 v4, v1, v0
	v_mov_b32_e32 v1, s11
	v_add_co_u32_e32 v0, vcc, s10, v2
	v_addc_co_u32_e32 v1, vcc, v1, v3, vcc
	s_waitcnt lgkmcnt(0)
	global_store_dword v[0:1], v4, off
.LBB10_6:
	s_endpgm
	.section	.rodata,"a",@progbits
	.p2align	6, 0x0
	.amdhsa_kernel _ZN9rocsparseL19nnz_compress_kernelILi1024ELi32ELi32EdEEvi21rocsparse_index_base_PKT2_PKiPiS2_
		.amdhsa_group_segment_fixed_size 0
		.amdhsa_private_segment_fixed_size 0
		.amdhsa_kernarg_size 40
		.amdhsa_user_sgpr_count 6
		.amdhsa_user_sgpr_private_segment_buffer 1
		.amdhsa_user_sgpr_dispatch_ptr 0
		.amdhsa_user_sgpr_queue_ptr 0
		.amdhsa_user_sgpr_kernarg_segment_ptr 1
		.amdhsa_user_sgpr_dispatch_id 0
		.amdhsa_user_sgpr_flat_scratch_init 0
		.amdhsa_user_sgpr_kernarg_preload_length 0
		.amdhsa_user_sgpr_kernarg_preload_offset 0
		.amdhsa_user_sgpr_private_segment_size 0
		.amdhsa_uses_dynamic_stack 0
		.amdhsa_system_sgpr_private_segment_wavefront_offset 0
		.amdhsa_system_sgpr_workgroup_id_x 1
		.amdhsa_system_sgpr_workgroup_id_y 0
		.amdhsa_system_sgpr_workgroup_id_z 0
		.amdhsa_system_sgpr_workgroup_info 0
		.amdhsa_system_vgpr_workitem_id 0
		.amdhsa_next_free_vgpr 10
		.amdhsa_next_free_sgpr 14
		.amdhsa_accum_offset 12
		.amdhsa_reserve_vcc 1
		.amdhsa_reserve_flat_scratch 0
		.amdhsa_float_round_mode_32 0
		.amdhsa_float_round_mode_16_64 0
		.amdhsa_float_denorm_mode_32 3
		.amdhsa_float_denorm_mode_16_64 3
		.amdhsa_dx10_clamp 1
		.amdhsa_ieee_mode 1
		.amdhsa_fp16_overflow 0
		.amdhsa_tg_split 0
		.amdhsa_exception_fp_ieee_invalid_op 0
		.amdhsa_exception_fp_denorm_src 0
		.amdhsa_exception_fp_ieee_div_zero 0
		.amdhsa_exception_fp_ieee_overflow 0
		.amdhsa_exception_fp_ieee_underflow 0
		.amdhsa_exception_fp_ieee_inexact 0
		.amdhsa_exception_int_div_zero 0
	.end_amdhsa_kernel
	.section	.text._ZN9rocsparseL19nnz_compress_kernelILi1024ELi32ELi32EdEEvi21rocsparse_index_base_PKT2_PKiPiS2_,"axG",@progbits,_ZN9rocsparseL19nnz_compress_kernelILi1024ELi32ELi32EdEEvi21rocsparse_index_base_PKT2_PKiPiS2_,comdat
.Lfunc_end10:
	.size	_ZN9rocsparseL19nnz_compress_kernelILi1024ELi32ELi32EdEEvi21rocsparse_index_base_PKT2_PKiPiS2_, .Lfunc_end10-_ZN9rocsparseL19nnz_compress_kernelILi1024ELi32ELi32EdEEvi21rocsparse_index_base_PKT2_PKiPiS2_
                                        ; -- End function
	.section	.AMDGPU.csdata,"",@progbits
; Kernel info:
; codeLenInByte = 436
; NumSgprs: 18
; NumVgprs: 10
; NumAgprs: 0
; TotalNumVgprs: 10
; ScratchSize: 0
; MemoryBound: 0
; FloatMode: 240
; IeeeMode: 1
; LDSByteSize: 0 bytes/workgroup (compile time only)
; SGPRBlocks: 2
; VGPRBlocks: 1
; NumSGPRsForWavesPerEU: 18
; NumVGPRsForWavesPerEU: 10
; AccumOffset: 12
; Occupancy: 8
; WaveLimiterHint : 0
; COMPUTE_PGM_RSRC2:SCRATCH_EN: 0
; COMPUTE_PGM_RSRC2:USER_SGPR: 6
; COMPUTE_PGM_RSRC2:TRAP_HANDLER: 0
; COMPUTE_PGM_RSRC2:TGID_X_EN: 1
; COMPUTE_PGM_RSRC2:TGID_Y_EN: 0
; COMPUTE_PGM_RSRC2:TGID_Z_EN: 0
; COMPUTE_PGM_RSRC2:TIDIG_COMP_CNT: 0
; COMPUTE_PGM_RSRC3_GFX90A:ACCUM_OFFSET: 2
; COMPUTE_PGM_RSRC3_GFX90A:TG_SPLIT: 0
	.section	.text._ZN9rocsparseL19nnz_compress_kernelILi1024ELi16ELi64EdEEvi21rocsparse_index_base_PKT2_PKiPiS2_,"axG",@progbits,_ZN9rocsparseL19nnz_compress_kernelILi1024ELi16ELi64EdEEvi21rocsparse_index_base_PKT2_PKiPiS2_,comdat
	.globl	_ZN9rocsparseL19nnz_compress_kernelILi1024ELi16ELi64EdEEvi21rocsparse_index_base_PKT2_PKiPiS2_ ; -- Begin function _ZN9rocsparseL19nnz_compress_kernelILi1024ELi16ELi64EdEEvi21rocsparse_index_base_PKT2_PKiPiS2_
	.p2align	8
	.type	_ZN9rocsparseL19nnz_compress_kernelILi1024ELi16ELi64EdEEvi21rocsparse_index_base_PKT2_PKiPiS2_,@function
_ZN9rocsparseL19nnz_compress_kernelILi1024ELi16ELi64EdEEvi21rocsparse_index_base_PKT2_PKiPiS2_: ; @_ZN9rocsparseL19nnz_compress_kernelILi1024ELi16ELi64EdEEvi21rocsparse_index_base_PKT2_PKiPiS2_
; %bb.0:
	s_load_dwordx2 s[0:1], s[4:5], 0x0
	v_lshrrev_b32_e32 v1, 6, v0
	v_lshl_or_b32 v2, s6, 4, v1
	s_waitcnt lgkmcnt(0)
	v_cmp_gt_i32_e32 vcc, s0, v2
	s_and_saveexec_b64 s[2:3], vcc
	s_cbranch_execz .LBB11_6
; %bb.1:
	s_load_dwordx4 s[8:11], s[4:5], 0x10
	v_ashrrev_i32_e32 v3, 31, v2
	v_lshlrev_b64 v[2:3], 2, v[2:3]
	v_and_b32_e32 v0, 63, v0
	v_subrev_u32_e32 v0, s1, v0
	s_waitcnt lgkmcnt(0)
	v_mov_b32_e32 v1, s9
	v_add_co_u32_e32 v4, vcc, s8, v2
	v_addc_co_u32_e32 v5, vcc, v1, v3, vcc
	global_load_dwordx2 v[4:5], v[4:5], off
	v_mov_b32_e32 v1, 0
	s_waitcnt vmcnt(0)
	v_subrev_u32_e32 v6, s1, v5
	v_add_u32_e32 v0, v4, v0
	v_cmp_lt_i32_e32 vcc, v0, v6
	s_and_saveexec_b64 s[6:7], vcc
	s_cbranch_execz .LBB11_5
; %bb.2:
	s_load_dwordx2 s[0:1], s[4:5], 0x8
	s_load_dwordx2 s[8:9], s[4:5], 0x20
	v_ashrrev_i32_e32 v1, 31, v0
	v_lshlrev_b64 v[4:5], 3, v[0:1]
	s_mov_b32 s12, 0
	s_waitcnt lgkmcnt(0)
	v_mov_b32_e32 v1, s1
	v_add_co_u32_e32 v4, vcc, s0, v4
	v_addc_co_u32_e32 v5, vcc, v1, v5, vcc
	s_mov_b64 s[4:5], 0
	v_mov_b32_e32 v1, 0
	s_mov_b32 s13, 0x38100000
.LBB11_3:                               ; =>This Inner Loop Header: Depth=1
	global_load_dwordx2 v[8:9], v[4:5], off
	v_add_co_u32_e32 v4, vcc, 0x200, v4
	v_add_u32_e32 v0, 64, v0
	v_addc_co_u32_e32 v5, vcc, 0, v5, vcc
	v_cmp_ge_i32_e32 vcc, v0, v6
	s_waitcnt vmcnt(0)
	v_xor_b32_e32 v7, 0x80000000, v9
	v_cmp_gt_f64_e64 s[0:1], 0, v[8:9]
	v_cndmask_b32_e64 v9, v9, v7, s[0:1]
	v_cndmask_b32_e64 v8, v8, v8, s[0:1]
	v_cmp_lt_f64_e64 s[0:1], s[8:9], v[8:9]
	v_cmp_lt_f64_e64 s[2:3], s[12:13], v[8:9]
	s_and_b64 s[0:1], s[0:1], s[2:3]
	s_or_b64 s[4:5], vcc, s[4:5]
	v_addc_co_u32_e64 v1, vcc, 0, v1, s[0:1]
	s_andn2_b64 exec, exec, s[4:5]
	s_cbranch_execnz .LBB11_3
; %bb.4:
	s_or_b64 exec, exec, s[4:5]
.LBB11_5:
	s_or_b64 exec, exec, s[6:7]
	v_mov_b32_dpp v0, v1 row_shr:1 row_mask:0xf bank_mask:0xf
	v_add_u32_e32 v0, v0, v1
	v_bfrev_b32_e32 v4, 0.5
	s_nop 0
	v_mov_b32_dpp v1, v0 row_shr:2 row_mask:0xf bank_mask:0xf
	v_add_u32_e32 v0, v0, v1
	s_nop 1
	v_mov_b32_dpp v1, v0 row_shr:4 row_mask:0xf bank_mask:0xe
	v_add_u32_e32 v0, v0, v1
	s_nop 1
	v_mov_b32_dpp v1, v0 row_shr:8 row_mask:0xf bank_mask:0xc
	v_add_u32_e32 v0, v0, v1
	s_nop 1
	v_mov_b32_dpp v1, v0 row_bcast:15 row_mask:0xa bank_mask:0xf
	v_add_u32_e32 v0, v0, v1
	s_nop 1
	v_mov_b32_dpp v1, v0 row_bcast:31 row_mask:0xc bank_mask:0xf
	v_add_u32_e32 v0, v0, v1
	v_mbcnt_lo_u32_b32 v1, -1, 0
	v_mbcnt_hi_u32_b32 v1, -1, v1
	v_lshl_or_b32 v1, v1, 2, v4
	ds_bpermute_b32 v4, v1, v0
	v_mov_b32_e32 v1, s11
	v_add_co_u32_e32 v0, vcc, s10, v2
	v_addc_co_u32_e32 v1, vcc, v1, v3, vcc
	s_waitcnt lgkmcnt(0)
	global_store_dword v[0:1], v4, off
.LBB11_6:
	s_endpgm
	.section	.rodata,"a",@progbits
	.p2align	6, 0x0
	.amdhsa_kernel _ZN9rocsparseL19nnz_compress_kernelILi1024ELi16ELi64EdEEvi21rocsparse_index_base_PKT2_PKiPiS2_
		.amdhsa_group_segment_fixed_size 0
		.amdhsa_private_segment_fixed_size 0
		.amdhsa_kernarg_size 40
		.amdhsa_user_sgpr_count 6
		.amdhsa_user_sgpr_private_segment_buffer 1
		.amdhsa_user_sgpr_dispatch_ptr 0
		.amdhsa_user_sgpr_queue_ptr 0
		.amdhsa_user_sgpr_kernarg_segment_ptr 1
		.amdhsa_user_sgpr_dispatch_id 0
		.amdhsa_user_sgpr_flat_scratch_init 0
		.amdhsa_user_sgpr_kernarg_preload_length 0
		.amdhsa_user_sgpr_kernarg_preload_offset 0
		.amdhsa_user_sgpr_private_segment_size 0
		.amdhsa_uses_dynamic_stack 0
		.amdhsa_system_sgpr_private_segment_wavefront_offset 0
		.amdhsa_system_sgpr_workgroup_id_x 1
		.amdhsa_system_sgpr_workgroup_id_y 0
		.amdhsa_system_sgpr_workgroup_id_z 0
		.amdhsa_system_sgpr_workgroup_info 0
		.amdhsa_system_vgpr_workitem_id 0
		.amdhsa_next_free_vgpr 10
		.amdhsa_next_free_sgpr 14
		.amdhsa_accum_offset 12
		.amdhsa_reserve_vcc 1
		.amdhsa_reserve_flat_scratch 0
		.amdhsa_float_round_mode_32 0
		.amdhsa_float_round_mode_16_64 0
		.amdhsa_float_denorm_mode_32 3
		.amdhsa_float_denorm_mode_16_64 3
		.amdhsa_dx10_clamp 1
		.amdhsa_ieee_mode 1
		.amdhsa_fp16_overflow 0
		.amdhsa_tg_split 0
		.amdhsa_exception_fp_ieee_invalid_op 0
		.amdhsa_exception_fp_denorm_src 0
		.amdhsa_exception_fp_ieee_div_zero 0
		.amdhsa_exception_fp_ieee_overflow 0
		.amdhsa_exception_fp_ieee_underflow 0
		.amdhsa_exception_fp_ieee_inexact 0
		.amdhsa_exception_int_div_zero 0
	.end_amdhsa_kernel
	.section	.text._ZN9rocsparseL19nnz_compress_kernelILi1024ELi16ELi64EdEEvi21rocsparse_index_base_PKT2_PKiPiS2_,"axG",@progbits,_ZN9rocsparseL19nnz_compress_kernelILi1024ELi16ELi64EdEEvi21rocsparse_index_base_PKT2_PKiPiS2_,comdat
.Lfunc_end11:
	.size	_ZN9rocsparseL19nnz_compress_kernelILi1024ELi16ELi64EdEEvi21rocsparse_index_base_PKT2_PKiPiS2_, .Lfunc_end11-_ZN9rocsparseL19nnz_compress_kernelILi1024ELi16ELi64EdEEvi21rocsparse_index_base_PKT2_PKiPiS2_
                                        ; -- End function
	.section	.AMDGPU.csdata,"",@progbits
; Kernel info:
; codeLenInByte = 448
; NumSgprs: 18
; NumVgprs: 10
; NumAgprs: 0
; TotalNumVgprs: 10
; ScratchSize: 0
; MemoryBound: 0
; FloatMode: 240
; IeeeMode: 1
; LDSByteSize: 0 bytes/workgroup (compile time only)
; SGPRBlocks: 2
; VGPRBlocks: 1
; NumSGPRsForWavesPerEU: 18
; NumVGPRsForWavesPerEU: 10
; AccumOffset: 12
; Occupancy: 8
; WaveLimiterHint : 0
; COMPUTE_PGM_RSRC2:SCRATCH_EN: 0
; COMPUTE_PGM_RSRC2:USER_SGPR: 6
; COMPUTE_PGM_RSRC2:TRAP_HANDLER: 0
; COMPUTE_PGM_RSRC2:TGID_X_EN: 1
; COMPUTE_PGM_RSRC2:TGID_Y_EN: 0
; COMPUTE_PGM_RSRC2:TGID_Z_EN: 0
; COMPUTE_PGM_RSRC2:TIDIG_COMP_CNT: 0
; COMPUTE_PGM_RSRC3_GFX90A:ACCUM_OFFSET: 2
; COMPUTE_PGM_RSRC3_GFX90A:TG_SPLIT: 0
	.section	.text._ZN9rocsparseL19nnz_compress_kernelILi1024ELi512ELi2E21rocsparse_complex_numIfEEEvi21rocsparse_index_base_PKT2_PKiPiS4_,"axG",@progbits,_ZN9rocsparseL19nnz_compress_kernelILi1024ELi512ELi2E21rocsparse_complex_numIfEEEvi21rocsparse_index_base_PKT2_PKiPiS4_,comdat
	.globl	_ZN9rocsparseL19nnz_compress_kernelILi1024ELi512ELi2E21rocsparse_complex_numIfEEEvi21rocsparse_index_base_PKT2_PKiPiS4_ ; -- Begin function _ZN9rocsparseL19nnz_compress_kernelILi1024ELi512ELi2E21rocsparse_complex_numIfEEEvi21rocsparse_index_base_PKT2_PKiPiS4_
	.p2align	8
	.type	_ZN9rocsparseL19nnz_compress_kernelILi1024ELi512ELi2E21rocsparse_complex_numIfEEEvi21rocsparse_index_base_PKT2_PKiPiS4_,@function
_ZN9rocsparseL19nnz_compress_kernelILi1024ELi512ELi2E21rocsparse_complex_numIfEEEvi21rocsparse_index_base_PKT2_PKiPiS4_: ; @_ZN9rocsparseL19nnz_compress_kernelILi1024ELi512ELi2E21rocsparse_complex_numIfEEEvi21rocsparse_index_base_PKT2_PKiPiS4_
; %bb.0:
	s_load_dwordx2 s[0:1], s[4:5], 0x0
	v_lshrrev_b32_e32 v1, 1, v0
	v_lshl_or_b32 v2, s6, 9, v1
	s_waitcnt lgkmcnt(0)
	v_cmp_gt_i32_e32 vcc, s0, v2
	s_and_saveexec_b64 s[2:3], vcc
	s_cbranch_execz .LBB12_28
; %bb.1:
	s_load_dwordx4 s[28:31], s[4:5], 0x10
	v_ashrrev_i32_e32 v3, 31, v2
	v_lshlrev_b64 v[2:3], 2, v[2:3]
	v_mov_b32_e32 v8, 0
	s_waitcnt lgkmcnt(0)
	v_mov_b32_e32 v1, s29
	v_add_co_u32_e32 v4, vcc, s28, v2
	v_addc_co_u32_e32 v5, vcc, v1, v3, vcc
	global_load_dwordx2 v[4:5], v[4:5], off
	v_and_b32_e32 v1, 1, v0
	v_subrev_u32_e32 v0, s1, v1
	s_waitcnt vmcnt(0)
	v_subrev_u32_e32 v10, s1, v5
	v_add_u32_e32 v0, v4, v0
	v_cmp_lt_i32_e32 vcc, v0, v10
	s_and_saveexec_b64 s[28:29], vcc
	s_cbranch_execz .LBB12_27
; %bb.2:
	v_add_u32_e32 v5, v4, v1
	v_subrev_u32_e32 v5, s1, v5
	s_load_dwordx2 s[34:35], s[4:5], 0x8
	s_load_dword s33, s[4:5], 0x20
	v_add_u32_e32 v5, 2, v5
	v_max_i32_e32 v5, v5, v10
	v_not_b32_e32 v4, v4
	v_add3_u32 v4, v5, s1, v4
	v_sub_u32_e32 v1, v4, v1
	v_cmp_lt_u32_e32 vcc, 1, v1
	s_mov_b64 s[0:1], -1
	v_mov_b32_e32 v8, 0
	s_and_saveexec_b64 s[36:37], vcc
	s_cbranch_execz .LBB12_6
; %bb.3:
	v_lshrrev_b32_e32 v1, 1, v1
	v_add_u32_e32 v11, 1, v1
	v_and_b32_e32 v12, -2, v11
	v_add_u32_e32 v1, 2, v0
	s_waitcnt lgkmcnt(0)
	s_mov_b32 s40, s33
	s_mov_b64 s[38:39], 0
	v_mov_b32_e32 v13, 0
	v_mov_b32_e32 v14, s35
	s_mov_b32 s41, 0xf800000
	v_mov_b32_e32 v15, 0x260
	s_mov_b32 s42, 0x800000
	v_mov_b32_e32 v16, v12
	v_pk_mov_b32 v[4:5], v[0:1], v[0:1] op_sel:[0,1]
	v_mov_b32_e32 v1, 0
.LBB12_4:                               ; =>This Inner Loop Header: Depth=1
	v_ashrrev_i32_e32 v9, 31, v4
	v_mov_b32_e32 v8, v4
	v_lshlrev_b64 v[8:9], 3, v[8:9]
	v_ashrrev_i32_e32 v7, 31, v5
	v_mov_b32_e32 v6, v5
	v_add_co_u32_e32 v8, vcc, s34, v8
	v_lshlrev_b64 v[6:7], 3, v[6:7]
	v_addc_co_u32_e32 v9, vcc, v14, v9, vcc
	v_add_co_u32_e32 v6, vcc, s34, v6
	v_addc_co_u32_e32 v7, vcc, v14, v7, vcc
	global_load_dwordx2 v[18:19], v[6:7], off
	global_load_dwordx2 v[20:21], v[8:9], off
	v_add_u32_e32 v16, -2, v16
	v_cmp_eq_u32_e64 s[0:1], 0, v16
	v_add_u32_e32 v5, 4, v5
	v_add_u32_e32 v4, 4, v4
	s_waitcnt vmcnt(1)
	v_cmp_gt_f32_e32 vcc, 0, v18
	v_cndmask_b32_e64 v7, v18, -v18, vcc
	s_waitcnt vmcnt(0)
	v_cmp_gt_f32_e32 vcc, 0, v20
	v_cndmask_b32_e64 v6, v20, -v20, vcc
	v_cmp_gt_f32_e32 vcc, 0, v19
	v_cndmask_b32_e64 v9, v19, -v19, vcc
	;; [unrolled: 2-line block ×3, first 2 shown]
	v_div_scale_f32 v17, s[18:19], v9, v9, v7
	v_cmp_eq_f32_e64 s[10:11], 0, v19
	v_cmp_neq_f32_e64 s[2:3], 0, v19
	v_div_scale_f32 v19, s[18:19], v8, v8, v6
	v_rcp_f32_e32 v25, v17
	v_rcp_f32_e32 v26, v19
	v_cmp_eq_f32_e64 s[12:13], 0, v21
	v_cmp_neq_f32_e64 s[4:5], 0, v21
	v_div_scale_f32 v21, s[20:21], v7, v7, v9
	v_div_scale_f32 v23, s[22:23], v6, v6, v8
	v_rcp_f32_e32 v27, v21
	v_rcp_f32_e32 v28, v23
	v_fma_f32 v29, -v17, v25, 1.0
	v_div_scale_f32 v18, vcc, v7, v9, v7
	v_fma_f32 v30, -v19, v26, 1.0
	v_fmac_f32_e32 v25, v29, v25
	v_div_scale_f32 v20, s[18:19], v6, v8, v6
	v_fmac_f32_e32 v26, v30, v26
	v_mul_f32_e32 v29, v18, v25
	v_fma_f32 v31, -v21, v27, 1.0
	v_mul_f32_e32 v30, v20, v26
	v_fma_f32 v33, -v17, v29, v18
	v_div_scale_f32 v22, s[20:21], v9, v7, v9
	v_fma_f32 v32, -v23, v28, 1.0
	v_fmac_f32_e32 v27, v31, v27
	v_fma_f32 v34, -v19, v30, v20
	v_fmac_f32_e32 v29, v33, v25
	v_div_scale_f32 v24, s[22:23], v8, v6, v8
	v_fmac_f32_e32 v28, v32, v28
	v_mul_f32_e32 v31, v22, v27
	v_fmac_f32_e32 v30, v34, v26
	v_fma_f32 v17, -v17, v29, v18
	v_mul_f32_e32 v32, v24, v28
	v_fma_f32 v35, -v21, v31, v22
	v_fma_f32 v18, -v19, v30, v20
	v_div_fmas_f32 v17, v17, v25, v29
	s_mov_b64 vcc, s[18:19]
	v_fma_f32 v36, -v23, v32, v24
	v_fmac_f32_e32 v31, v35, v27
	v_div_fixup_f32 v19, v17, v9, v7
	v_div_fmas_f32 v17, v18, v26, v30
	v_fmac_f32_e32 v32, v36, v28
	v_fma_f32 v20, -v21, v31, v22
	v_div_fixup_f32 v18, v17, v8, v6
	s_mov_b64 vcc, s[20:21]
	v_fma_f32 v22, -v23, v32, v24
	v_div_fmas_f32 v17, v20, v27, v31
	v_pk_fma_f32 v[18:19], v[18:19], v[18:19], 1.0 op_sel_hi:[1,1,0]
	s_mov_b64 vcc, s[22:23]
	v_div_fixup_f32 v21, v17, v7, v9
	v_div_fmas_f32 v17, v22, v28, v32
	v_mul_f32_e32 v22, 0x4f800000, v19
	v_cmp_gt_f32_e64 s[18:19], s41, v19
	v_mul_f32_e32 v23, 0x4f800000, v18
	v_cmp_gt_f32_e32 vcc, s41, v18
	v_div_fixup_f32 v20, v17, v6, v8
	v_cndmask_b32_e64 v17, v19, v22, s[18:19]
	v_cndmask_b32_e32 v22, v18, v23, vcc
	v_pk_fma_f32 v[18:19], v[20:21], v[20:21], 1.0 op_sel_hi:[1,1,0]
	v_sqrt_f32_e32 v20, v17
	v_sqrt_f32_e32 v21, v22
	v_mul_f32_e32 v23, 0x4f800000, v19
	v_cmp_gt_f32_e64 s[22:23], s41, v19
	v_mul_f32_e32 v24, 0x4f800000, v18
	v_cmp_gt_f32_e64 s[20:21], s41, v18
	v_cndmask_b32_e64 v23, v19, v23, s[22:23]
	v_cndmask_b32_e64 v24, v18, v24, s[20:21]
	v_sqrt_f32_e32 v18, v23
	v_sqrt_f32_e32 v19, v24
	v_add_u32_e32 v25, -1, v20
	v_add_u32_e32 v26, 1, v20
	v_add_u32_e32 v27, -1, v21
	v_fma_f32 v29, -v25, v20, v17
	v_add_u32_e32 v28, 1, v21
	v_fma_f32 v30, -v26, v20, v17
	v_fma_f32 v31, -v27, v21, v22
	v_cmp_ge_f32_e64 s[24:25], 0, v29
	v_fma_f32 v32, -v28, v21, v22
	v_cndmask_b32_e64 v20, v20, v25, s[24:25]
	v_cmp_ge_f32_e64 s[24:25], 0, v31
	v_add_u32_e32 v25, -1, v18
	v_cmp_lt_f32_e64 s[26:27], 0, v30
	v_cndmask_b32_e64 v21, v21, v27, s[24:25]
	v_cmp_lt_f32_e64 s[24:25], 0, v32
	v_add_u32_e32 v29, -1, v19
	v_cndmask_b32_e64 v20, v20, v26, s[26:27]
	v_fma_f32 v26, -v25, v18, v23
	v_add_u32_e32 v27, 1, v18
	v_add_u32_e32 v31, 1, v19
	v_cndmask_b32_e64 v21, v21, v28, s[24:25]
	v_fma_f32 v30, -v29, v19, v24
	v_cmp_ge_f32_e64 s[24:25], 0, v26
	v_fma_f32 v28, -v27, v18, v23
	v_fma_f32 v32, -v31, v19, v24
	v_cndmask_b32_e64 v18, v18, v25, s[24:25]
	v_cmp_ge_f32_e64 s[24:25], 0, v30
	v_mul_f32_e32 v33, 0x37800000, v20
	v_mul_f32_e32 v34, 0x37800000, v21
	v_cndmask_b32_e64 v19, v19, v29, s[24:25]
	v_cmp_lt_f32_e64 s[24:25], 0, v32
	v_cmp_lt_f32_e64 s[26:27], 0, v28
	v_cndmask_b32_e64 v20, v20, v33, s[18:19]
	v_cndmask_b32_e32 v21, v21, v34, vcc
	v_cmp_class_f32_e32 vcc, v22, v15
	v_cndmask_b32_e64 v25, v18, v27, s[26:27]
	v_cndmask_b32_e64 v26, v19, v31, s[24:25]
	v_cmp_class_f32_e64 s[18:19], v17, v15
	v_cndmask_b32_e64 v19, v20, v17, s[18:19]
	v_cndmask_b32_e32 v18, v21, v22, vcc
	v_mul_f32_e32 v17, 0x37800000, v25
	v_mul_f32_e32 v20, 0x37800000, v26
	v_cmp_gt_f32_e64 s[14:15], v6, v8
	v_cmp_gt_f32_e64 s[16:17], v7, v9
	v_cmp_ngt_f32_e64 s[6:7], v7, v9
	v_cmp_ngt_f32_e64 s[8:9], v6, v8
	v_pk_mul_f32 v[8:9], v[8:9], v[18:19]
	v_cndmask_b32_e64 v17, v25, v17, s[22:23]
	v_cndmask_b32_e64 v18, v26, v20, s[20:21]
	v_cmp_class_f32_e32 vcc, v24, v15
	v_cmp_class_f32_e64 s[18:19], v23, v15
	v_cndmask_b32_e64 v19, v17, v23, s[18:19]
	v_cndmask_b32_e32 v18, v18, v24, vcc
	v_pk_mul_f32 v[6:7], v[6:7], v[18:19]
	s_or_b64 vcc, s[16:17], s[10:11]
	s_or_b64 s[14:15], s[14:15], s[12:13]
	v_cndmask_b32_e32 v18, v9, v7, vcc
	s_and_b64 s[10:11], s[6:7], s[10:11]
	v_cndmask_b32_e64 v17, v8, v6, s[14:15]
	s_and_b64 s[12:13], s[8:9], s[12:13]
	v_cndmask_b32_e64 v18, v18, 0, s[10:11]
	v_cndmask_b32_e64 v17, v17, 0, s[12:13]
	v_cmp_lt_f32_e64 s[10:11], s40, v18
	v_cmp_lt_f32_e32 vcc, s33, v17
	s_and_b64 s[12:13], s[10:11], s[6:7]
	s_and_b64 s[8:9], vcc, s[8:9]
	s_and_b64 s[6:7], s[12:13], s[2:3]
	v_cndmask_b32_e64 v7, v7, v9, s[6:7]
	s_and_b64 s[6:7], s[8:9], s[4:5]
	s_xor_b64 s[14:15], s[8:9], -1
	s_xor_b64 s[12:13], s[12:13], -1
	v_cndmask_b32_e64 v6, v6, v8, s[6:7]
	s_or_b64 s[2:3], s[12:13], s[2:3]
	s_or_b64 s[4:5], s[14:15], s[4:5]
	v_cmp_lt_f32_e64 s[6:7], s42, v6
	v_cmp_lt_f32_e64 s[8:9], s42, v7
	s_and_b64 s[4:5], vcc, s[4:5]
	s_and_b64 s[2:3], s[10:11], s[2:3]
	s_and_b64 s[4:5], s[4:5], s[6:7]
	;; [unrolled: 1-line block ×3, first 2 shown]
	v_cndmask_b32_e64 v6, 0, 1, s[4:5]
	v_cndmask_b32_e64 v7, 0, 1, s[2:3]
	v_add_u32_e32 v1, v1, v7
	s_or_b64 s[38:39], s[0:1], s[38:39]
	v_add_u32_e32 v13, v13, v6
	s_andn2_b64 exec, exec, s[38:39]
	s_cbranch_execnz .LBB12_4
; %bb.5:
	s_or_b64 exec, exec, s[38:39]
	v_cmp_ne_u32_e32 vcc, v11, v12
	v_lshl_add_u32 v0, v12, 1, v0
	v_add_u32_e32 v8, v13, v1
	s_orn2_b64 s[0:1], vcc, exec
.LBB12_6:
	s_or_b64 exec, exec, s[36:37]
	s_and_saveexec_b64 s[4:5], s[0:1]
	s_cbranch_execz .LBB12_26
; %bb.7:
	v_ashrrev_i32_e32 v1, 31, v0
	v_lshlrev_b64 v[4:5], 3, v[0:1]
	s_waitcnt lgkmcnt(0)
	v_mov_b32_e32 v1, s35
	v_add_co_u32_e32 v4, vcc, s34, v4
	v_addc_co_u32_e32 v5, vcc, v1, v5, vcc
	s_mov_b64 s[6:7], 0
	s_mov_b32 s12, 0xf800000
	v_mov_b32_e32 v1, 0x260
	s_mov_b32 s13, 0x800000
	s_branch .LBB12_10
.LBB12_8:                               ;   in Loop: Header=BB12_10 Depth=1
	s_or_b64 exec, exec, s[0:1]
.LBB12_9:                               ;   in Loop: Header=BB12_10 Depth=1
	s_or_b64 exec, exec, s[2:3]
	v_add_u32_e32 v0, 2, v0
	v_cmp_ge_i32_e32 vcc, v0, v10
	s_or_b64 s[6:7], vcc, s[6:7]
	v_add_co_u32_e32 v4, vcc, 16, v4
	v_addc_co_u32_e32 v5, vcc, 0, v5, vcc
	s_andn2_b64 exec, exec, s[6:7]
	s_cbranch_execz .LBB12_25
.LBB12_10:                              ; =>This Inner Loop Header: Depth=1
	global_load_dwordx2 v[6:7], v[4:5], off
                                        ; implicit-def: $vgpr11
	s_waitcnt vmcnt(0)
	v_cmp_gt_f32_e32 vcc, 0, v6
	v_cndmask_b32_e64 v6, v6, -v6, vcc
	v_cmp_gt_f32_e32 vcc, 0, v7
	v_cndmask_b32_e64 v9, v7, -v7, vcc
	v_cmp_ngt_f32_e64 s[0:1], v6, v9
	s_and_saveexec_b64 s[2:3], s[0:1]
	s_xor_b64 s[8:9], exec, s[2:3]
	s_cbranch_execnz .LBB12_13
; %bb.11:                               ;   in Loop: Header=BB12_10 Depth=1
	s_andn2_saveexec_b64 s[8:9], s[8:9]
	s_cbranch_execnz .LBB12_16
.LBB12_12:                              ;   in Loop: Header=BB12_10 Depth=1
	s_or_b64 exec, exec, s[8:9]
	v_cmp_lt_f32_e32 vcc, s33, v11
	s_and_saveexec_b64 s[2:3], vcc
	s_cbranch_execz .LBB12_9
	s_branch .LBB12_17
.LBB12_13:                              ;   in Loop: Header=BB12_10 Depth=1
	v_cmp_neq_f32_e32 vcc, 0, v7
	v_mov_b32_e32 v11, 0
	s_and_saveexec_b64 s[10:11], vcc
	s_cbranch_execz .LBB12_15
; %bb.14:                               ;   in Loop: Header=BB12_10 Depth=1
	v_div_scale_f32 v11, s[2:3], v9, v9, v6
	v_rcp_f32_e32 v12, v11
	v_div_scale_f32 v13, vcc, v6, v9, v6
	v_fma_f32 v14, -v11, v12, 1.0
	v_fmac_f32_e32 v12, v14, v12
	v_mul_f32_e32 v14, v13, v12
	v_fma_f32 v15, -v11, v14, v13
	v_fmac_f32_e32 v14, v15, v12
	v_fma_f32 v11, -v11, v14, v13
	v_div_fmas_f32 v11, v11, v12, v14
	v_div_fixup_f32 v11, v11, v9, v6
	v_fma_f32 v11, v11, v11, 1.0
	v_mul_f32_e32 v12, 0x4f800000, v11
	v_cmp_gt_f32_e32 vcc, s12, v11
	v_cndmask_b32_e32 v11, v11, v12, vcc
	v_sqrt_f32_e32 v12, v11
	v_add_u32_e32 v13, -1, v12
	v_fma_f32 v14, -v13, v12, v11
	v_cmp_ge_f32_e64 s[2:3], 0, v14
	v_add_u32_e32 v14, 1, v12
	v_cndmask_b32_e64 v13, v12, v13, s[2:3]
	v_fma_f32 v12, -v14, v12, v11
	v_cmp_lt_f32_e64 s[2:3], 0, v12
	v_cndmask_b32_e64 v12, v13, v14, s[2:3]
	v_mul_f32_e32 v13, 0x37800000, v12
	v_cndmask_b32_e32 v12, v12, v13, vcc
	v_cmp_class_f32_e32 vcc, v11, v1
	v_cndmask_b32_e32 v11, v12, v11, vcc
	v_mul_f32_e32 v11, v9, v11
.LBB12_15:                              ;   in Loop: Header=BB12_10 Depth=1
	s_or_b64 exec, exec, s[10:11]
	s_andn2_saveexec_b64 s[8:9], s[8:9]
	s_cbranch_execz .LBB12_12
.LBB12_16:                              ;   in Loop: Header=BB12_10 Depth=1
	v_div_scale_f32 v11, s[2:3], v6, v6, v9
	v_rcp_f32_e32 v12, v11
	v_div_scale_f32 v13, vcc, v9, v6, v9
	v_fma_f32 v14, -v11, v12, 1.0
	v_fmac_f32_e32 v12, v14, v12
	v_mul_f32_e32 v14, v13, v12
	v_fma_f32 v15, -v11, v14, v13
	v_fmac_f32_e32 v14, v15, v12
	v_fma_f32 v11, -v11, v14, v13
	v_div_fmas_f32 v11, v11, v12, v14
	v_div_fixup_f32 v11, v11, v6, v9
	v_fma_f32 v11, v11, v11, 1.0
	v_mul_f32_e32 v12, 0x4f800000, v11
	v_cmp_gt_f32_e32 vcc, s12, v11
	v_cndmask_b32_e32 v11, v11, v12, vcc
	v_sqrt_f32_e32 v12, v11
	v_add_u32_e32 v13, -1, v12
	v_fma_f32 v14, -v13, v12, v11
	v_cmp_ge_f32_e64 s[2:3], 0, v14
	v_add_u32_e32 v14, 1, v12
	v_cndmask_b32_e64 v13, v12, v13, s[2:3]
	v_fma_f32 v12, -v14, v12, v11
	v_cmp_lt_f32_e64 s[2:3], 0, v12
	v_cndmask_b32_e64 v12, v13, v14, s[2:3]
	v_mul_f32_e32 v13, 0x37800000, v12
	v_cndmask_b32_e32 v12, v12, v13, vcc
	v_cmp_class_f32_e32 vcc, v11, v1
	v_cndmask_b32_e32 v11, v12, v11, vcc
	v_mul_f32_e32 v11, v6, v11
	s_or_b64 exec, exec, s[8:9]
	v_cmp_lt_f32_e32 vcc, s33, v11
	s_and_saveexec_b64 s[2:3], vcc
	s_cbranch_execz .LBB12_9
.LBB12_17:                              ;   in Loop: Header=BB12_10 Depth=1
                                        ; implicit-def: $vgpr11
	s_and_saveexec_b64 s[8:9], s[0:1]
	s_xor_b64 s[8:9], exec, s[8:9]
	s_cbranch_execnz .LBB12_20
; %bb.18:                               ;   in Loop: Header=BB12_10 Depth=1
	s_andn2_saveexec_b64 s[8:9], s[8:9]
	s_cbranch_execnz .LBB12_23
.LBB12_19:                              ;   in Loop: Header=BB12_10 Depth=1
	s_or_b64 exec, exec, s[8:9]
	v_cmp_lt_f32_e32 vcc, s13, v11
	s_and_saveexec_b64 s[0:1], vcc
	s_cbranch_execz .LBB12_8
	s_branch .LBB12_24
.LBB12_20:                              ;   in Loop: Header=BB12_10 Depth=1
	v_cmp_neq_f32_e32 vcc, 0, v7
	v_mov_b32_e32 v11, 0
	s_and_saveexec_b64 s[10:11], vcc
	s_cbranch_execz .LBB12_22
; %bb.21:                               ;   in Loop: Header=BB12_10 Depth=1
	v_div_scale_f32 v7, s[0:1], v9, v9, v6
	v_rcp_f32_e32 v11, v7
	v_div_scale_f32 v12, vcc, v6, v9, v6
	v_fma_f32 v13, -v7, v11, 1.0
	v_fmac_f32_e32 v11, v13, v11
	v_mul_f32_e32 v13, v12, v11
	v_fma_f32 v14, -v7, v13, v12
	v_fmac_f32_e32 v13, v14, v11
	v_fma_f32 v7, -v7, v13, v12
	v_div_fmas_f32 v7, v7, v11, v13
	v_div_fixup_f32 v6, v7, v9, v6
	v_fma_f32 v6, v6, v6, 1.0
	v_mul_f32_e32 v7, 0x4f800000, v6
	v_cmp_gt_f32_e32 vcc, s12, v6
	v_cndmask_b32_e32 v6, v6, v7, vcc
	v_sqrt_f32_e32 v7, v6
	v_add_u32_e32 v11, -1, v7
	v_fma_f32 v12, -v11, v7, v6
	v_cmp_ge_f32_e64 s[0:1], 0, v12
	v_add_u32_e32 v12, 1, v7
	v_cndmask_b32_e64 v11, v7, v11, s[0:1]
	v_fma_f32 v7, -v12, v7, v6
	v_cmp_lt_f32_e64 s[0:1], 0, v7
	v_cndmask_b32_e64 v7, v11, v12, s[0:1]
	v_mul_f32_e32 v11, 0x37800000, v7
	v_cndmask_b32_e32 v7, v7, v11, vcc
	v_cmp_class_f32_e32 vcc, v6, v1
	v_cndmask_b32_e32 v6, v7, v6, vcc
	v_mul_f32_e32 v11, v9, v6
.LBB12_22:                              ;   in Loop: Header=BB12_10 Depth=1
	s_or_b64 exec, exec, s[10:11]
                                        ; implicit-def: $vgpr6
                                        ; implicit-def: $vgpr9
	s_andn2_saveexec_b64 s[8:9], s[8:9]
	s_cbranch_execz .LBB12_19
.LBB12_23:                              ;   in Loop: Header=BB12_10 Depth=1
	v_div_scale_f32 v7, s[0:1], v6, v6, v9
	v_rcp_f32_e32 v11, v7
	v_div_scale_f32 v12, vcc, v9, v6, v9
	v_fma_f32 v13, -v7, v11, 1.0
	v_fmac_f32_e32 v11, v13, v11
	v_mul_f32_e32 v13, v12, v11
	v_fma_f32 v14, -v7, v13, v12
	v_fmac_f32_e32 v13, v14, v11
	v_fma_f32 v7, -v7, v13, v12
	v_div_fmas_f32 v7, v7, v11, v13
	v_div_fixup_f32 v7, v7, v6, v9
	v_fma_f32 v7, v7, v7, 1.0
	v_mul_f32_e32 v9, 0x4f800000, v7
	v_cmp_gt_f32_e32 vcc, s12, v7
	v_cndmask_b32_e32 v7, v7, v9, vcc
	v_sqrt_f32_e32 v9, v7
	v_add_u32_e32 v11, -1, v9
	v_fma_f32 v12, -v11, v9, v7
	v_cmp_ge_f32_e64 s[0:1], 0, v12
	v_add_u32_e32 v12, 1, v9
	v_cndmask_b32_e64 v11, v9, v11, s[0:1]
	v_fma_f32 v9, -v12, v9, v7
	v_cmp_lt_f32_e64 s[0:1], 0, v9
	v_cndmask_b32_e64 v9, v11, v12, s[0:1]
	v_mul_f32_e32 v11, 0x37800000, v9
	v_cndmask_b32_e32 v9, v9, v11, vcc
	v_cmp_class_f32_e32 vcc, v7, v1
	v_cndmask_b32_e32 v7, v9, v7, vcc
	v_mul_f32_e32 v11, v6, v7
	s_or_b64 exec, exec, s[8:9]
	v_cmp_lt_f32_e32 vcc, s13, v11
	s_and_saveexec_b64 s[0:1], vcc
	s_cbranch_execz .LBB12_8
.LBB12_24:                              ;   in Loop: Header=BB12_10 Depth=1
	v_add_u32_e32 v8, 1, v8
	s_branch .LBB12_8
.LBB12_25:
	s_or_b64 exec, exec, s[6:7]
.LBB12_26:
	s_or_b64 exec, exec, s[4:5]
.LBB12_27:
	s_or_b64 exec, exec, s[28:29]
	v_mbcnt_lo_u32_b32 v1, -1, 0
	v_mov_b32_dpp v0, v8 row_shr:1 row_mask:0xf bank_mask:0xf
	v_mbcnt_hi_u32_b32 v1, -1, v1
	v_add_u32_e32 v0, v0, v8
	v_lshl_or_b32 v1, v1, 2, 4
	ds_bpermute_b32 v4, v1, v0
	v_mov_b32_e32 v1, s31
	v_add_co_u32_e32 v0, vcc, s30, v2
	v_addc_co_u32_e32 v1, vcc, v1, v3, vcc
	s_waitcnt lgkmcnt(0)
	global_store_dword v[0:1], v4, off
.LBB12_28:
	s_endpgm
	.section	.rodata,"a",@progbits
	.p2align	6, 0x0
	.amdhsa_kernel _ZN9rocsparseL19nnz_compress_kernelILi1024ELi512ELi2E21rocsparse_complex_numIfEEEvi21rocsparse_index_base_PKT2_PKiPiS4_
		.amdhsa_group_segment_fixed_size 0
		.amdhsa_private_segment_fixed_size 0
		.amdhsa_kernarg_size 40
		.amdhsa_user_sgpr_count 6
		.amdhsa_user_sgpr_private_segment_buffer 1
		.amdhsa_user_sgpr_dispatch_ptr 0
		.amdhsa_user_sgpr_queue_ptr 0
		.amdhsa_user_sgpr_kernarg_segment_ptr 1
		.amdhsa_user_sgpr_dispatch_id 0
		.amdhsa_user_sgpr_flat_scratch_init 0
		.amdhsa_user_sgpr_kernarg_preload_length 0
		.amdhsa_user_sgpr_kernarg_preload_offset 0
		.amdhsa_user_sgpr_private_segment_size 0
		.amdhsa_uses_dynamic_stack 0
		.amdhsa_system_sgpr_private_segment_wavefront_offset 0
		.amdhsa_system_sgpr_workgroup_id_x 1
		.amdhsa_system_sgpr_workgroup_id_y 0
		.amdhsa_system_sgpr_workgroup_id_z 0
		.amdhsa_system_sgpr_workgroup_info 0
		.amdhsa_system_vgpr_workitem_id 0
		.amdhsa_next_free_vgpr 37
		.amdhsa_next_free_sgpr 43
		.amdhsa_accum_offset 40
		.amdhsa_reserve_vcc 1
		.amdhsa_reserve_flat_scratch 0
		.amdhsa_float_round_mode_32 0
		.amdhsa_float_round_mode_16_64 0
		.amdhsa_float_denorm_mode_32 3
		.amdhsa_float_denorm_mode_16_64 3
		.amdhsa_dx10_clamp 1
		.amdhsa_ieee_mode 1
		.amdhsa_fp16_overflow 0
		.amdhsa_tg_split 0
		.amdhsa_exception_fp_ieee_invalid_op 0
		.amdhsa_exception_fp_denorm_src 0
		.amdhsa_exception_fp_ieee_div_zero 0
		.amdhsa_exception_fp_ieee_overflow 0
		.amdhsa_exception_fp_ieee_underflow 0
		.amdhsa_exception_fp_ieee_inexact 0
		.amdhsa_exception_int_div_zero 0
	.end_amdhsa_kernel
	.section	.text._ZN9rocsparseL19nnz_compress_kernelILi1024ELi512ELi2E21rocsparse_complex_numIfEEEvi21rocsparse_index_base_PKT2_PKiPiS4_,"axG",@progbits,_ZN9rocsparseL19nnz_compress_kernelILi1024ELi512ELi2E21rocsparse_complex_numIfEEEvi21rocsparse_index_base_PKT2_PKiPiS4_,comdat
.Lfunc_end12:
	.size	_ZN9rocsparseL19nnz_compress_kernelILi1024ELi512ELi2E21rocsparse_complex_numIfEEEvi21rocsparse_index_base_PKT2_PKiPiS4_, .Lfunc_end12-_ZN9rocsparseL19nnz_compress_kernelILi1024ELi512ELi2E21rocsparse_complex_numIfEEEvi21rocsparse_index_base_PKT2_PKiPiS4_
                                        ; -- End function
	.section	.AMDGPU.csdata,"",@progbits
; Kernel info:
; codeLenInByte = 2560
; NumSgprs: 47
; NumVgprs: 37
; NumAgprs: 0
; TotalNumVgprs: 37
; ScratchSize: 0
; MemoryBound: 0
; FloatMode: 240
; IeeeMode: 1
; LDSByteSize: 0 bytes/workgroup (compile time only)
; SGPRBlocks: 5
; VGPRBlocks: 4
; NumSGPRsForWavesPerEU: 47
; NumVGPRsForWavesPerEU: 37
; AccumOffset: 40
; Occupancy: 8
; WaveLimiterHint : 0
; COMPUTE_PGM_RSRC2:SCRATCH_EN: 0
; COMPUTE_PGM_RSRC2:USER_SGPR: 6
; COMPUTE_PGM_RSRC2:TRAP_HANDLER: 0
; COMPUTE_PGM_RSRC2:TGID_X_EN: 1
; COMPUTE_PGM_RSRC2:TGID_Y_EN: 0
; COMPUTE_PGM_RSRC2:TGID_Z_EN: 0
; COMPUTE_PGM_RSRC2:TIDIG_COMP_CNT: 0
; COMPUTE_PGM_RSRC3_GFX90A:ACCUM_OFFSET: 9
; COMPUTE_PGM_RSRC3_GFX90A:TG_SPLIT: 0
	.section	.text._ZN9rocsparseL19nnz_compress_kernelILi1024ELi256ELi4E21rocsparse_complex_numIfEEEvi21rocsparse_index_base_PKT2_PKiPiS4_,"axG",@progbits,_ZN9rocsparseL19nnz_compress_kernelILi1024ELi256ELi4E21rocsparse_complex_numIfEEEvi21rocsparse_index_base_PKT2_PKiPiS4_,comdat
	.globl	_ZN9rocsparseL19nnz_compress_kernelILi1024ELi256ELi4E21rocsparse_complex_numIfEEEvi21rocsparse_index_base_PKT2_PKiPiS4_ ; -- Begin function _ZN9rocsparseL19nnz_compress_kernelILi1024ELi256ELi4E21rocsparse_complex_numIfEEEvi21rocsparse_index_base_PKT2_PKiPiS4_
	.p2align	8
	.type	_ZN9rocsparseL19nnz_compress_kernelILi1024ELi256ELi4E21rocsparse_complex_numIfEEEvi21rocsparse_index_base_PKT2_PKiPiS4_,@function
_ZN9rocsparseL19nnz_compress_kernelILi1024ELi256ELi4E21rocsparse_complex_numIfEEEvi21rocsparse_index_base_PKT2_PKiPiS4_: ; @_ZN9rocsparseL19nnz_compress_kernelILi1024ELi256ELi4E21rocsparse_complex_numIfEEEvi21rocsparse_index_base_PKT2_PKiPiS4_
; %bb.0:
	s_load_dwordx2 s[0:1], s[4:5], 0x0
	v_lshrrev_b32_e32 v1, 2, v0
	v_lshl_or_b32 v2, s6, 8, v1
	s_waitcnt lgkmcnt(0)
	v_cmp_gt_i32_e32 vcc, s0, v2
	s_and_saveexec_b64 s[2:3], vcc
	s_cbranch_execz .LBB13_28
; %bb.1:
	s_load_dwordx4 s[28:31], s[4:5], 0x10
	v_ashrrev_i32_e32 v3, 31, v2
	v_lshlrev_b64 v[2:3], 2, v[2:3]
	v_mov_b32_e32 v8, 0
	s_waitcnt lgkmcnt(0)
	v_mov_b32_e32 v1, s29
	v_add_co_u32_e32 v4, vcc, s28, v2
	v_addc_co_u32_e32 v5, vcc, v1, v3, vcc
	global_load_dwordx2 v[4:5], v[4:5], off
	v_and_b32_e32 v1, 3, v0
	v_subrev_u32_e32 v0, s1, v1
	s_waitcnt vmcnt(0)
	v_subrev_u32_e32 v10, s1, v5
	v_add_u32_e32 v0, v4, v0
	v_cmp_lt_i32_e32 vcc, v0, v10
	s_and_saveexec_b64 s[28:29], vcc
	s_cbranch_execz .LBB13_27
; %bb.2:
	v_add_u32_e32 v5, v4, v1
	v_subrev_u32_e32 v5, s1, v5
	s_load_dwordx2 s[34:35], s[4:5], 0x8
	s_load_dword s33, s[4:5], 0x20
	v_add_u32_e32 v5, 4, v5
	v_max_i32_e32 v5, v5, v10
	v_not_b32_e32 v4, v4
	v_add3_u32 v4, v5, s1, v4
	v_sub_u32_e32 v1, v4, v1
	v_cmp_lt_u32_e32 vcc, 3, v1
	s_mov_b64 s[0:1], -1
	v_mov_b32_e32 v8, 0
	s_and_saveexec_b64 s[36:37], vcc
	s_cbranch_execz .LBB13_6
; %bb.3:
	v_lshrrev_b32_e32 v1, 2, v1
	v_add_u32_e32 v11, 1, v1
	v_and_b32_e32 v12, 0x7ffffffe, v11
	v_add_u32_e32 v1, 4, v0
	s_waitcnt lgkmcnt(0)
	s_mov_b32 s40, s33
	s_mov_b64 s[38:39], 0
	v_mov_b32_e32 v13, 0
	v_mov_b32_e32 v14, s35
	s_mov_b32 s41, 0xf800000
	v_mov_b32_e32 v15, 0x260
	s_mov_b32 s42, 0x800000
	v_mov_b32_e32 v16, v12
	v_pk_mov_b32 v[4:5], v[0:1], v[0:1] op_sel:[0,1]
	v_mov_b32_e32 v1, 0
.LBB13_4:                               ; =>This Inner Loop Header: Depth=1
	v_ashrrev_i32_e32 v9, 31, v4
	v_mov_b32_e32 v8, v4
	v_lshlrev_b64 v[8:9], 3, v[8:9]
	v_ashrrev_i32_e32 v7, 31, v5
	v_mov_b32_e32 v6, v5
	v_add_co_u32_e32 v8, vcc, s34, v8
	v_lshlrev_b64 v[6:7], 3, v[6:7]
	v_addc_co_u32_e32 v9, vcc, v14, v9, vcc
	v_add_co_u32_e32 v6, vcc, s34, v6
	v_addc_co_u32_e32 v7, vcc, v14, v7, vcc
	global_load_dwordx2 v[18:19], v[6:7], off
	global_load_dwordx2 v[20:21], v[8:9], off
	v_add_u32_e32 v16, -2, v16
	v_cmp_eq_u32_e64 s[0:1], 0, v16
	v_add_u32_e32 v5, 8, v5
	v_add_u32_e32 v4, 8, v4
	s_waitcnt vmcnt(1)
	v_cmp_gt_f32_e32 vcc, 0, v18
	v_cndmask_b32_e64 v7, v18, -v18, vcc
	s_waitcnt vmcnt(0)
	v_cmp_gt_f32_e32 vcc, 0, v20
	v_cndmask_b32_e64 v6, v20, -v20, vcc
	v_cmp_gt_f32_e32 vcc, 0, v19
	v_cndmask_b32_e64 v9, v19, -v19, vcc
	;; [unrolled: 2-line block ×3, first 2 shown]
	v_div_scale_f32 v17, s[18:19], v9, v9, v7
	v_cmp_eq_f32_e64 s[10:11], 0, v19
	v_cmp_neq_f32_e64 s[2:3], 0, v19
	v_div_scale_f32 v19, s[18:19], v8, v8, v6
	v_rcp_f32_e32 v25, v17
	v_rcp_f32_e32 v26, v19
	v_cmp_eq_f32_e64 s[12:13], 0, v21
	v_cmp_neq_f32_e64 s[4:5], 0, v21
	v_div_scale_f32 v21, s[20:21], v7, v7, v9
	v_div_scale_f32 v23, s[22:23], v6, v6, v8
	v_rcp_f32_e32 v27, v21
	v_rcp_f32_e32 v28, v23
	v_fma_f32 v29, -v17, v25, 1.0
	v_div_scale_f32 v18, vcc, v7, v9, v7
	v_fma_f32 v30, -v19, v26, 1.0
	v_fmac_f32_e32 v25, v29, v25
	v_div_scale_f32 v20, s[18:19], v6, v8, v6
	v_fmac_f32_e32 v26, v30, v26
	v_mul_f32_e32 v29, v18, v25
	v_fma_f32 v31, -v21, v27, 1.0
	v_mul_f32_e32 v30, v20, v26
	v_fma_f32 v33, -v17, v29, v18
	v_div_scale_f32 v22, s[20:21], v9, v7, v9
	v_fma_f32 v32, -v23, v28, 1.0
	v_fmac_f32_e32 v27, v31, v27
	v_fma_f32 v34, -v19, v30, v20
	v_fmac_f32_e32 v29, v33, v25
	v_div_scale_f32 v24, s[22:23], v8, v6, v8
	v_fmac_f32_e32 v28, v32, v28
	v_mul_f32_e32 v31, v22, v27
	v_fmac_f32_e32 v30, v34, v26
	v_fma_f32 v17, -v17, v29, v18
	v_mul_f32_e32 v32, v24, v28
	v_fma_f32 v35, -v21, v31, v22
	v_fma_f32 v18, -v19, v30, v20
	v_div_fmas_f32 v17, v17, v25, v29
	s_mov_b64 vcc, s[18:19]
	v_fma_f32 v36, -v23, v32, v24
	v_fmac_f32_e32 v31, v35, v27
	v_div_fixup_f32 v19, v17, v9, v7
	v_div_fmas_f32 v17, v18, v26, v30
	v_fmac_f32_e32 v32, v36, v28
	v_fma_f32 v20, -v21, v31, v22
	v_div_fixup_f32 v18, v17, v8, v6
	s_mov_b64 vcc, s[20:21]
	v_fma_f32 v22, -v23, v32, v24
	v_div_fmas_f32 v17, v20, v27, v31
	v_pk_fma_f32 v[18:19], v[18:19], v[18:19], 1.0 op_sel_hi:[1,1,0]
	s_mov_b64 vcc, s[22:23]
	v_div_fixup_f32 v21, v17, v7, v9
	v_div_fmas_f32 v17, v22, v28, v32
	v_mul_f32_e32 v22, 0x4f800000, v19
	v_cmp_gt_f32_e64 s[18:19], s41, v19
	v_mul_f32_e32 v23, 0x4f800000, v18
	v_cmp_gt_f32_e32 vcc, s41, v18
	v_div_fixup_f32 v20, v17, v6, v8
	v_cndmask_b32_e64 v17, v19, v22, s[18:19]
	v_cndmask_b32_e32 v22, v18, v23, vcc
	v_pk_fma_f32 v[18:19], v[20:21], v[20:21], 1.0 op_sel_hi:[1,1,0]
	v_sqrt_f32_e32 v20, v17
	v_sqrt_f32_e32 v21, v22
	v_mul_f32_e32 v23, 0x4f800000, v19
	v_cmp_gt_f32_e64 s[22:23], s41, v19
	v_mul_f32_e32 v24, 0x4f800000, v18
	v_cmp_gt_f32_e64 s[20:21], s41, v18
	v_cndmask_b32_e64 v23, v19, v23, s[22:23]
	v_cndmask_b32_e64 v24, v18, v24, s[20:21]
	v_sqrt_f32_e32 v18, v23
	v_sqrt_f32_e32 v19, v24
	v_add_u32_e32 v25, -1, v20
	v_add_u32_e32 v26, 1, v20
	v_add_u32_e32 v27, -1, v21
	v_fma_f32 v29, -v25, v20, v17
	v_add_u32_e32 v28, 1, v21
	v_fma_f32 v30, -v26, v20, v17
	v_fma_f32 v31, -v27, v21, v22
	v_cmp_ge_f32_e64 s[24:25], 0, v29
	v_fma_f32 v32, -v28, v21, v22
	v_cndmask_b32_e64 v20, v20, v25, s[24:25]
	v_cmp_ge_f32_e64 s[24:25], 0, v31
	v_add_u32_e32 v25, -1, v18
	v_cmp_lt_f32_e64 s[26:27], 0, v30
	v_cndmask_b32_e64 v21, v21, v27, s[24:25]
	v_cmp_lt_f32_e64 s[24:25], 0, v32
	v_add_u32_e32 v29, -1, v19
	v_cndmask_b32_e64 v20, v20, v26, s[26:27]
	v_fma_f32 v26, -v25, v18, v23
	v_add_u32_e32 v27, 1, v18
	v_add_u32_e32 v31, 1, v19
	v_cndmask_b32_e64 v21, v21, v28, s[24:25]
	v_fma_f32 v30, -v29, v19, v24
	v_cmp_ge_f32_e64 s[24:25], 0, v26
	v_fma_f32 v28, -v27, v18, v23
	v_fma_f32 v32, -v31, v19, v24
	v_cndmask_b32_e64 v18, v18, v25, s[24:25]
	v_cmp_ge_f32_e64 s[24:25], 0, v30
	v_mul_f32_e32 v33, 0x37800000, v20
	v_mul_f32_e32 v34, 0x37800000, v21
	v_cndmask_b32_e64 v19, v19, v29, s[24:25]
	v_cmp_lt_f32_e64 s[24:25], 0, v32
	v_cmp_lt_f32_e64 s[26:27], 0, v28
	v_cndmask_b32_e64 v20, v20, v33, s[18:19]
	v_cndmask_b32_e32 v21, v21, v34, vcc
	v_cmp_class_f32_e32 vcc, v22, v15
	v_cndmask_b32_e64 v25, v18, v27, s[26:27]
	v_cndmask_b32_e64 v26, v19, v31, s[24:25]
	v_cmp_class_f32_e64 s[18:19], v17, v15
	v_cndmask_b32_e64 v19, v20, v17, s[18:19]
	v_cndmask_b32_e32 v18, v21, v22, vcc
	v_mul_f32_e32 v17, 0x37800000, v25
	v_mul_f32_e32 v20, 0x37800000, v26
	v_cmp_gt_f32_e64 s[14:15], v6, v8
	v_cmp_gt_f32_e64 s[16:17], v7, v9
	v_cmp_ngt_f32_e64 s[6:7], v7, v9
	v_cmp_ngt_f32_e64 s[8:9], v6, v8
	v_pk_mul_f32 v[8:9], v[8:9], v[18:19]
	v_cndmask_b32_e64 v17, v25, v17, s[22:23]
	v_cndmask_b32_e64 v18, v26, v20, s[20:21]
	v_cmp_class_f32_e32 vcc, v24, v15
	v_cmp_class_f32_e64 s[18:19], v23, v15
	v_cndmask_b32_e64 v19, v17, v23, s[18:19]
	v_cndmask_b32_e32 v18, v18, v24, vcc
	v_pk_mul_f32 v[6:7], v[6:7], v[18:19]
	s_or_b64 vcc, s[16:17], s[10:11]
	s_or_b64 s[14:15], s[14:15], s[12:13]
	v_cndmask_b32_e32 v18, v9, v7, vcc
	s_and_b64 s[10:11], s[6:7], s[10:11]
	v_cndmask_b32_e64 v17, v8, v6, s[14:15]
	s_and_b64 s[12:13], s[8:9], s[12:13]
	v_cndmask_b32_e64 v18, v18, 0, s[10:11]
	v_cndmask_b32_e64 v17, v17, 0, s[12:13]
	v_cmp_lt_f32_e64 s[10:11], s40, v18
	v_cmp_lt_f32_e32 vcc, s33, v17
	s_and_b64 s[12:13], s[10:11], s[6:7]
	s_and_b64 s[8:9], vcc, s[8:9]
	s_and_b64 s[6:7], s[12:13], s[2:3]
	v_cndmask_b32_e64 v7, v7, v9, s[6:7]
	s_and_b64 s[6:7], s[8:9], s[4:5]
	s_xor_b64 s[14:15], s[8:9], -1
	s_xor_b64 s[12:13], s[12:13], -1
	v_cndmask_b32_e64 v6, v6, v8, s[6:7]
	s_or_b64 s[2:3], s[12:13], s[2:3]
	s_or_b64 s[4:5], s[14:15], s[4:5]
	v_cmp_lt_f32_e64 s[6:7], s42, v6
	v_cmp_lt_f32_e64 s[8:9], s42, v7
	s_and_b64 s[4:5], vcc, s[4:5]
	s_and_b64 s[2:3], s[10:11], s[2:3]
	s_and_b64 s[4:5], s[4:5], s[6:7]
	;; [unrolled: 1-line block ×3, first 2 shown]
	v_cndmask_b32_e64 v6, 0, 1, s[4:5]
	v_cndmask_b32_e64 v7, 0, 1, s[2:3]
	v_add_u32_e32 v1, v1, v7
	s_or_b64 s[38:39], s[0:1], s[38:39]
	v_add_u32_e32 v13, v13, v6
	s_andn2_b64 exec, exec, s[38:39]
	s_cbranch_execnz .LBB13_4
; %bb.5:
	s_or_b64 exec, exec, s[38:39]
	v_cmp_ne_u32_e32 vcc, v11, v12
	v_lshl_add_u32 v0, v12, 2, v0
	v_add_u32_e32 v8, v13, v1
	s_orn2_b64 s[0:1], vcc, exec
.LBB13_6:
	s_or_b64 exec, exec, s[36:37]
	s_and_saveexec_b64 s[4:5], s[0:1]
	s_cbranch_execz .LBB13_26
; %bb.7:
	v_ashrrev_i32_e32 v1, 31, v0
	v_lshlrev_b64 v[4:5], 3, v[0:1]
	s_waitcnt lgkmcnt(0)
	v_mov_b32_e32 v1, s35
	v_add_co_u32_e32 v4, vcc, s34, v4
	v_addc_co_u32_e32 v5, vcc, v1, v5, vcc
	s_mov_b64 s[6:7], 0
	s_mov_b32 s12, 0xf800000
	v_mov_b32_e32 v1, 0x260
	s_mov_b32 s13, 0x800000
	s_branch .LBB13_10
.LBB13_8:                               ;   in Loop: Header=BB13_10 Depth=1
	s_or_b64 exec, exec, s[0:1]
.LBB13_9:                               ;   in Loop: Header=BB13_10 Depth=1
	s_or_b64 exec, exec, s[2:3]
	v_add_u32_e32 v0, 4, v0
	v_cmp_ge_i32_e32 vcc, v0, v10
	s_or_b64 s[6:7], vcc, s[6:7]
	v_add_co_u32_e32 v4, vcc, 32, v4
	v_addc_co_u32_e32 v5, vcc, 0, v5, vcc
	s_andn2_b64 exec, exec, s[6:7]
	s_cbranch_execz .LBB13_25
.LBB13_10:                              ; =>This Inner Loop Header: Depth=1
	global_load_dwordx2 v[6:7], v[4:5], off
                                        ; implicit-def: $vgpr11
	s_waitcnt vmcnt(0)
	v_cmp_gt_f32_e32 vcc, 0, v6
	v_cndmask_b32_e64 v6, v6, -v6, vcc
	v_cmp_gt_f32_e32 vcc, 0, v7
	v_cndmask_b32_e64 v9, v7, -v7, vcc
	v_cmp_ngt_f32_e64 s[0:1], v6, v9
	s_and_saveexec_b64 s[2:3], s[0:1]
	s_xor_b64 s[8:9], exec, s[2:3]
	s_cbranch_execnz .LBB13_13
; %bb.11:                               ;   in Loop: Header=BB13_10 Depth=1
	s_andn2_saveexec_b64 s[8:9], s[8:9]
	s_cbranch_execnz .LBB13_16
.LBB13_12:                              ;   in Loop: Header=BB13_10 Depth=1
	s_or_b64 exec, exec, s[8:9]
	v_cmp_lt_f32_e32 vcc, s33, v11
	s_and_saveexec_b64 s[2:3], vcc
	s_cbranch_execz .LBB13_9
	s_branch .LBB13_17
.LBB13_13:                              ;   in Loop: Header=BB13_10 Depth=1
	v_cmp_neq_f32_e32 vcc, 0, v7
	v_mov_b32_e32 v11, 0
	s_and_saveexec_b64 s[10:11], vcc
	s_cbranch_execz .LBB13_15
; %bb.14:                               ;   in Loop: Header=BB13_10 Depth=1
	v_div_scale_f32 v11, s[2:3], v9, v9, v6
	v_rcp_f32_e32 v12, v11
	v_div_scale_f32 v13, vcc, v6, v9, v6
	v_fma_f32 v14, -v11, v12, 1.0
	v_fmac_f32_e32 v12, v14, v12
	v_mul_f32_e32 v14, v13, v12
	v_fma_f32 v15, -v11, v14, v13
	v_fmac_f32_e32 v14, v15, v12
	v_fma_f32 v11, -v11, v14, v13
	v_div_fmas_f32 v11, v11, v12, v14
	v_div_fixup_f32 v11, v11, v9, v6
	v_fma_f32 v11, v11, v11, 1.0
	v_mul_f32_e32 v12, 0x4f800000, v11
	v_cmp_gt_f32_e32 vcc, s12, v11
	v_cndmask_b32_e32 v11, v11, v12, vcc
	v_sqrt_f32_e32 v12, v11
	v_add_u32_e32 v13, -1, v12
	v_fma_f32 v14, -v13, v12, v11
	v_cmp_ge_f32_e64 s[2:3], 0, v14
	v_add_u32_e32 v14, 1, v12
	v_cndmask_b32_e64 v13, v12, v13, s[2:3]
	v_fma_f32 v12, -v14, v12, v11
	v_cmp_lt_f32_e64 s[2:3], 0, v12
	v_cndmask_b32_e64 v12, v13, v14, s[2:3]
	v_mul_f32_e32 v13, 0x37800000, v12
	v_cndmask_b32_e32 v12, v12, v13, vcc
	v_cmp_class_f32_e32 vcc, v11, v1
	v_cndmask_b32_e32 v11, v12, v11, vcc
	v_mul_f32_e32 v11, v9, v11
.LBB13_15:                              ;   in Loop: Header=BB13_10 Depth=1
	s_or_b64 exec, exec, s[10:11]
	s_andn2_saveexec_b64 s[8:9], s[8:9]
	s_cbranch_execz .LBB13_12
.LBB13_16:                              ;   in Loop: Header=BB13_10 Depth=1
	v_div_scale_f32 v11, s[2:3], v6, v6, v9
	v_rcp_f32_e32 v12, v11
	v_div_scale_f32 v13, vcc, v9, v6, v9
	v_fma_f32 v14, -v11, v12, 1.0
	v_fmac_f32_e32 v12, v14, v12
	v_mul_f32_e32 v14, v13, v12
	v_fma_f32 v15, -v11, v14, v13
	v_fmac_f32_e32 v14, v15, v12
	v_fma_f32 v11, -v11, v14, v13
	v_div_fmas_f32 v11, v11, v12, v14
	v_div_fixup_f32 v11, v11, v6, v9
	v_fma_f32 v11, v11, v11, 1.0
	v_mul_f32_e32 v12, 0x4f800000, v11
	v_cmp_gt_f32_e32 vcc, s12, v11
	v_cndmask_b32_e32 v11, v11, v12, vcc
	v_sqrt_f32_e32 v12, v11
	v_add_u32_e32 v13, -1, v12
	v_fma_f32 v14, -v13, v12, v11
	v_cmp_ge_f32_e64 s[2:3], 0, v14
	v_add_u32_e32 v14, 1, v12
	v_cndmask_b32_e64 v13, v12, v13, s[2:3]
	v_fma_f32 v12, -v14, v12, v11
	v_cmp_lt_f32_e64 s[2:3], 0, v12
	v_cndmask_b32_e64 v12, v13, v14, s[2:3]
	v_mul_f32_e32 v13, 0x37800000, v12
	v_cndmask_b32_e32 v12, v12, v13, vcc
	v_cmp_class_f32_e32 vcc, v11, v1
	v_cndmask_b32_e32 v11, v12, v11, vcc
	v_mul_f32_e32 v11, v6, v11
	s_or_b64 exec, exec, s[8:9]
	v_cmp_lt_f32_e32 vcc, s33, v11
	s_and_saveexec_b64 s[2:3], vcc
	s_cbranch_execz .LBB13_9
.LBB13_17:                              ;   in Loop: Header=BB13_10 Depth=1
                                        ; implicit-def: $vgpr11
	s_and_saveexec_b64 s[8:9], s[0:1]
	s_xor_b64 s[8:9], exec, s[8:9]
	s_cbranch_execnz .LBB13_20
; %bb.18:                               ;   in Loop: Header=BB13_10 Depth=1
	s_andn2_saveexec_b64 s[8:9], s[8:9]
	s_cbranch_execnz .LBB13_23
.LBB13_19:                              ;   in Loop: Header=BB13_10 Depth=1
	s_or_b64 exec, exec, s[8:9]
	v_cmp_lt_f32_e32 vcc, s13, v11
	s_and_saveexec_b64 s[0:1], vcc
	s_cbranch_execz .LBB13_8
	s_branch .LBB13_24
.LBB13_20:                              ;   in Loop: Header=BB13_10 Depth=1
	v_cmp_neq_f32_e32 vcc, 0, v7
	v_mov_b32_e32 v11, 0
	s_and_saveexec_b64 s[10:11], vcc
	s_cbranch_execz .LBB13_22
; %bb.21:                               ;   in Loop: Header=BB13_10 Depth=1
	v_div_scale_f32 v7, s[0:1], v9, v9, v6
	v_rcp_f32_e32 v11, v7
	v_div_scale_f32 v12, vcc, v6, v9, v6
	v_fma_f32 v13, -v7, v11, 1.0
	v_fmac_f32_e32 v11, v13, v11
	v_mul_f32_e32 v13, v12, v11
	v_fma_f32 v14, -v7, v13, v12
	v_fmac_f32_e32 v13, v14, v11
	v_fma_f32 v7, -v7, v13, v12
	v_div_fmas_f32 v7, v7, v11, v13
	v_div_fixup_f32 v6, v7, v9, v6
	v_fma_f32 v6, v6, v6, 1.0
	v_mul_f32_e32 v7, 0x4f800000, v6
	v_cmp_gt_f32_e32 vcc, s12, v6
	v_cndmask_b32_e32 v6, v6, v7, vcc
	v_sqrt_f32_e32 v7, v6
	v_add_u32_e32 v11, -1, v7
	v_fma_f32 v12, -v11, v7, v6
	v_cmp_ge_f32_e64 s[0:1], 0, v12
	v_add_u32_e32 v12, 1, v7
	v_cndmask_b32_e64 v11, v7, v11, s[0:1]
	v_fma_f32 v7, -v12, v7, v6
	v_cmp_lt_f32_e64 s[0:1], 0, v7
	v_cndmask_b32_e64 v7, v11, v12, s[0:1]
	v_mul_f32_e32 v11, 0x37800000, v7
	v_cndmask_b32_e32 v7, v7, v11, vcc
	v_cmp_class_f32_e32 vcc, v6, v1
	v_cndmask_b32_e32 v6, v7, v6, vcc
	v_mul_f32_e32 v11, v9, v6
.LBB13_22:                              ;   in Loop: Header=BB13_10 Depth=1
	s_or_b64 exec, exec, s[10:11]
                                        ; implicit-def: $vgpr6
                                        ; implicit-def: $vgpr9
	s_andn2_saveexec_b64 s[8:9], s[8:9]
	s_cbranch_execz .LBB13_19
.LBB13_23:                              ;   in Loop: Header=BB13_10 Depth=1
	v_div_scale_f32 v7, s[0:1], v6, v6, v9
	v_rcp_f32_e32 v11, v7
	v_div_scale_f32 v12, vcc, v9, v6, v9
	v_fma_f32 v13, -v7, v11, 1.0
	v_fmac_f32_e32 v11, v13, v11
	v_mul_f32_e32 v13, v12, v11
	v_fma_f32 v14, -v7, v13, v12
	v_fmac_f32_e32 v13, v14, v11
	v_fma_f32 v7, -v7, v13, v12
	v_div_fmas_f32 v7, v7, v11, v13
	v_div_fixup_f32 v7, v7, v6, v9
	v_fma_f32 v7, v7, v7, 1.0
	v_mul_f32_e32 v9, 0x4f800000, v7
	v_cmp_gt_f32_e32 vcc, s12, v7
	v_cndmask_b32_e32 v7, v7, v9, vcc
	v_sqrt_f32_e32 v9, v7
	v_add_u32_e32 v11, -1, v9
	v_fma_f32 v12, -v11, v9, v7
	v_cmp_ge_f32_e64 s[0:1], 0, v12
	v_add_u32_e32 v12, 1, v9
	v_cndmask_b32_e64 v11, v9, v11, s[0:1]
	v_fma_f32 v9, -v12, v9, v7
	v_cmp_lt_f32_e64 s[0:1], 0, v9
	v_cndmask_b32_e64 v9, v11, v12, s[0:1]
	v_mul_f32_e32 v11, 0x37800000, v9
	v_cndmask_b32_e32 v9, v9, v11, vcc
	v_cmp_class_f32_e32 vcc, v7, v1
	v_cndmask_b32_e32 v7, v9, v7, vcc
	v_mul_f32_e32 v11, v6, v7
	s_or_b64 exec, exec, s[8:9]
	v_cmp_lt_f32_e32 vcc, s13, v11
	s_and_saveexec_b64 s[0:1], vcc
	s_cbranch_execz .LBB13_8
.LBB13_24:                              ;   in Loop: Header=BB13_10 Depth=1
	v_add_u32_e32 v8, 1, v8
	s_branch .LBB13_8
.LBB13_25:
	s_or_b64 exec, exec, s[6:7]
.LBB13_26:
	s_or_b64 exec, exec, s[4:5]
.LBB13_27:
	s_or_b64 exec, exec, s[28:29]
	v_mov_b32_dpp v0, v8 row_shr:1 row_mask:0xf bank_mask:0xf
	v_add_u32_e32 v0, v0, v8
	s_nop 1
	v_mov_b32_dpp v1, v0 row_shr:2 row_mask:0xf bank_mask:0xf
	v_add_u32_e32 v0, v0, v1
	v_mbcnt_lo_u32_b32 v1, -1, 0
	v_mbcnt_hi_u32_b32 v1, -1, v1
	v_lshl_or_b32 v1, v1, 2, 12
	ds_bpermute_b32 v4, v1, v0
	v_mov_b32_e32 v1, s31
	v_add_co_u32_e32 v0, vcc, s30, v2
	v_addc_co_u32_e32 v1, vcc, v1, v3, vcc
	s_waitcnt lgkmcnt(0)
	global_store_dword v[0:1], v4, off
.LBB13_28:
	s_endpgm
	.section	.rodata,"a",@progbits
	.p2align	6, 0x0
	.amdhsa_kernel _ZN9rocsparseL19nnz_compress_kernelILi1024ELi256ELi4E21rocsparse_complex_numIfEEEvi21rocsparse_index_base_PKT2_PKiPiS4_
		.amdhsa_group_segment_fixed_size 0
		.amdhsa_private_segment_fixed_size 0
		.amdhsa_kernarg_size 40
		.amdhsa_user_sgpr_count 6
		.amdhsa_user_sgpr_private_segment_buffer 1
		.amdhsa_user_sgpr_dispatch_ptr 0
		.amdhsa_user_sgpr_queue_ptr 0
		.amdhsa_user_sgpr_kernarg_segment_ptr 1
		.amdhsa_user_sgpr_dispatch_id 0
		.amdhsa_user_sgpr_flat_scratch_init 0
		.amdhsa_user_sgpr_kernarg_preload_length 0
		.amdhsa_user_sgpr_kernarg_preload_offset 0
		.amdhsa_user_sgpr_private_segment_size 0
		.amdhsa_uses_dynamic_stack 0
		.amdhsa_system_sgpr_private_segment_wavefront_offset 0
		.amdhsa_system_sgpr_workgroup_id_x 1
		.amdhsa_system_sgpr_workgroup_id_y 0
		.amdhsa_system_sgpr_workgroup_id_z 0
		.amdhsa_system_sgpr_workgroup_info 0
		.amdhsa_system_vgpr_workitem_id 0
		.amdhsa_next_free_vgpr 37
		.amdhsa_next_free_sgpr 43
		.amdhsa_accum_offset 40
		.amdhsa_reserve_vcc 1
		.amdhsa_reserve_flat_scratch 0
		.amdhsa_float_round_mode_32 0
		.amdhsa_float_round_mode_16_64 0
		.amdhsa_float_denorm_mode_32 3
		.amdhsa_float_denorm_mode_16_64 3
		.amdhsa_dx10_clamp 1
		.amdhsa_ieee_mode 1
		.amdhsa_fp16_overflow 0
		.amdhsa_tg_split 0
		.amdhsa_exception_fp_ieee_invalid_op 0
		.amdhsa_exception_fp_denorm_src 0
		.amdhsa_exception_fp_ieee_div_zero 0
		.amdhsa_exception_fp_ieee_overflow 0
		.amdhsa_exception_fp_ieee_underflow 0
		.amdhsa_exception_fp_ieee_inexact 0
		.amdhsa_exception_int_div_zero 0
	.end_amdhsa_kernel
	.section	.text._ZN9rocsparseL19nnz_compress_kernelILi1024ELi256ELi4E21rocsparse_complex_numIfEEEvi21rocsparse_index_base_PKT2_PKiPiS4_,"axG",@progbits,_ZN9rocsparseL19nnz_compress_kernelILi1024ELi256ELi4E21rocsparse_complex_numIfEEEvi21rocsparse_index_base_PKT2_PKiPiS4_,comdat
.Lfunc_end13:
	.size	_ZN9rocsparseL19nnz_compress_kernelILi1024ELi256ELi4E21rocsparse_complex_numIfEEEvi21rocsparse_index_base_PKT2_PKiPiS4_, .Lfunc_end13-_ZN9rocsparseL19nnz_compress_kernelILi1024ELi256ELi4E21rocsparse_complex_numIfEEEvi21rocsparse_index_base_PKT2_PKiPiS4_
                                        ; -- End function
	.section	.AMDGPU.csdata,"",@progbits
; Kernel info:
; codeLenInByte = 2580
; NumSgprs: 47
; NumVgprs: 37
; NumAgprs: 0
; TotalNumVgprs: 37
; ScratchSize: 0
; MemoryBound: 0
; FloatMode: 240
; IeeeMode: 1
; LDSByteSize: 0 bytes/workgroup (compile time only)
; SGPRBlocks: 5
; VGPRBlocks: 4
; NumSGPRsForWavesPerEU: 47
; NumVGPRsForWavesPerEU: 37
; AccumOffset: 40
; Occupancy: 8
; WaveLimiterHint : 0
; COMPUTE_PGM_RSRC2:SCRATCH_EN: 0
; COMPUTE_PGM_RSRC2:USER_SGPR: 6
; COMPUTE_PGM_RSRC2:TRAP_HANDLER: 0
; COMPUTE_PGM_RSRC2:TGID_X_EN: 1
; COMPUTE_PGM_RSRC2:TGID_Y_EN: 0
; COMPUTE_PGM_RSRC2:TGID_Z_EN: 0
; COMPUTE_PGM_RSRC2:TIDIG_COMP_CNT: 0
; COMPUTE_PGM_RSRC3_GFX90A:ACCUM_OFFSET: 9
; COMPUTE_PGM_RSRC3_GFX90A:TG_SPLIT: 0
	.section	.text._ZN9rocsparseL19nnz_compress_kernelILi1024ELi128ELi8E21rocsparse_complex_numIfEEEvi21rocsparse_index_base_PKT2_PKiPiS4_,"axG",@progbits,_ZN9rocsparseL19nnz_compress_kernelILi1024ELi128ELi8E21rocsparse_complex_numIfEEEvi21rocsparse_index_base_PKT2_PKiPiS4_,comdat
	.globl	_ZN9rocsparseL19nnz_compress_kernelILi1024ELi128ELi8E21rocsparse_complex_numIfEEEvi21rocsparse_index_base_PKT2_PKiPiS4_ ; -- Begin function _ZN9rocsparseL19nnz_compress_kernelILi1024ELi128ELi8E21rocsparse_complex_numIfEEEvi21rocsparse_index_base_PKT2_PKiPiS4_
	.p2align	8
	.type	_ZN9rocsparseL19nnz_compress_kernelILi1024ELi128ELi8E21rocsparse_complex_numIfEEEvi21rocsparse_index_base_PKT2_PKiPiS4_,@function
_ZN9rocsparseL19nnz_compress_kernelILi1024ELi128ELi8E21rocsparse_complex_numIfEEEvi21rocsparse_index_base_PKT2_PKiPiS4_: ; @_ZN9rocsparseL19nnz_compress_kernelILi1024ELi128ELi8E21rocsparse_complex_numIfEEEvi21rocsparse_index_base_PKT2_PKiPiS4_
; %bb.0:
	s_load_dwordx2 s[0:1], s[4:5], 0x0
	v_lshrrev_b32_e32 v1, 3, v0
	v_lshl_or_b32 v2, s6, 7, v1
	s_waitcnt lgkmcnt(0)
	v_cmp_gt_i32_e32 vcc, s0, v2
	s_and_saveexec_b64 s[2:3], vcc
	s_cbranch_execz .LBB14_28
; %bb.1:
	s_load_dwordx4 s[28:31], s[4:5], 0x10
	v_ashrrev_i32_e32 v3, 31, v2
	v_lshlrev_b64 v[2:3], 2, v[2:3]
	v_mov_b32_e32 v8, 0
	s_waitcnt lgkmcnt(0)
	v_mov_b32_e32 v1, s29
	v_add_co_u32_e32 v4, vcc, s28, v2
	v_addc_co_u32_e32 v5, vcc, v1, v3, vcc
	global_load_dwordx2 v[4:5], v[4:5], off
	v_and_b32_e32 v1, 7, v0
	v_subrev_u32_e32 v0, s1, v1
	s_waitcnt vmcnt(0)
	v_subrev_u32_e32 v10, s1, v5
	v_add_u32_e32 v0, v4, v0
	v_cmp_lt_i32_e32 vcc, v0, v10
	s_and_saveexec_b64 s[28:29], vcc
	s_cbranch_execz .LBB14_27
; %bb.2:
	v_add_u32_e32 v5, v4, v1
	v_subrev_u32_e32 v5, s1, v5
	s_load_dwordx2 s[34:35], s[4:5], 0x8
	s_load_dword s33, s[4:5], 0x20
	v_add_u32_e32 v5, 8, v5
	v_max_i32_e32 v5, v5, v10
	v_not_b32_e32 v4, v4
	v_add3_u32 v4, v5, s1, v4
	v_sub_u32_e32 v1, v4, v1
	v_cmp_lt_u32_e32 vcc, 7, v1
	s_mov_b64 s[0:1], -1
	v_mov_b32_e32 v8, 0
	s_and_saveexec_b64 s[36:37], vcc
	s_cbranch_execz .LBB14_6
; %bb.3:
	v_lshrrev_b32_e32 v1, 3, v1
	v_add_u32_e32 v11, 1, v1
	v_and_b32_e32 v12, 0x3ffffffe, v11
	v_add_u32_e32 v1, 8, v0
	s_waitcnt lgkmcnt(0)
	s_mov_b32 s40, s33
	s_mov_b64 s[38:39], 0
	v_mov_b32_e32 v13, 0
	v_mov_b32_e32 v14, s35
	s_mov_b32 s41, 0xf800000
	v_mov_b32_e32 v15, 0x260
	s_mov_b32 s42, 0x800000
	v_mov_b32_e32 v16, v12
	v_pk_mov_b32 v[4:5], v[0:1], v[0:1] op_sel:[0,1]
	v_mov_b32_e32 v1, 0
.LBB14_4:                               ; =>This Inner Loop Header: Depth=1
	v_ashrrev_i32_e32 v9, 31, v4
	v_mov_b32_e32 v8, v4
	v_lshlrev_b64 v[8:9], 3, v[8:9]
	v_ashrrev_i32_e32 v7, 31, v5
	v_mov_b32_e32 v6, v5
	v_add_co_u32_e32 v8, vcc, s34, v8
	v_lshlrev_b64 v[6:7], 3, v[6:7]
	v_addc_co_u32_e32 v9, vcc, v14, v9, vcc
	v_add_co_u32_e32 v6, vcc, s34, v6
	v_addc_co_u32_e32 v7, vcc, v14, v7, vcc
	global_load_dwordx2 v[18:19], v[6:7], off
	global_load_dwordx2 v[20:21], v[8:9], off
	v_add_u32_e32 v16, -2, v16
	v_cmp_eq_u32_e64 s[0:1], 0, v16
	v_add_u32_e32 v5, 16, v5
	v_add_u32_e32 v4, 16, v4
	s_waitcnt vmcnt(1)
	v_cmp_gt_f32_e32 vcc, 0, v18
	v_cndmask_b32_e64 v7, v18, -v18, vcc
	s_waitcnt vmcnt(0)
	v_cmp_gt_f32_e32 vcc, 0, v20
	v_cndmask_b32_e64 v6, v20, -v20, vcc
	v_cmp_gt_f32_e32 vcc, 0, v19
	v_cndmask_b32_e64 v9, v19, -v19, vcc
	;; [unrolled: 2-line block ×3, first 2 shown]
	v_div_scale_f32 v17, s[18:19], v9, v9, v7
	v_cmp_eq_f32_e64 s[10:11], 0, v19
	v_cmp_neq_f32_e64 s[2:3], 0, v19
	v_div_scale_f32 v19, s[18:19], v8, v8, v6
	v_rcp_f32_e32 v25, v17
	v_rcp_f32_e32 v26, v19
	v_cmp_eq_f32_e64 s[12:13], 0, v21
	v_cmp_neq_f32_e64 s[4:5], 0, v21
	v_div_scale_f32 v21, s[20:21], v7, v7, v9
	v_div_scale_f32 v23, s[22:23], v6, v6, v8
	v_rcp_f32_e32 v27, v21
	v_rcp_f32_e32 v28, v23
	v_fma_f32 v29, -v17, v25, 1.0
	v_div_scale_f32 v18, vcc, v7, v9, v7
	v_fma_f32 v30, -v19, v26, 1.0
	v_fmac_f32_e32 v25, v29, v25
	v_div_scale_f32 v20, s[18:19], v6, v8, v6
	v_fmac_f32_e32 v26, v30, v26
	v_mul_f32_e32 v29, v18, v25
	v_fma_f32 v31, -v21, v27, 1.0
	v_mul_f32_e32 v30, v20, v26
	v_fma_f32 v33, -v17, v29, v18
	v_div_scale_f32 v22, s[20:21], v9, v7, v9
	v_fma_f32 v32, -v23, v28, 1.0
	v_fmac_f32_e32 v27, v31, v27
	v_fma_f32 v34, -v19, v30, v20
	v_fmac_f32_e32 v29, v33, v25
	v_div_scale_f32 v24, s[22:23], v8, v6, v8
	v_fmac_f32_e32 v28, v32, v28
	v_mul_f32_e32 v31, v22, v27
	v_fmac_f32_e32 v30, v34, v26
	v_fma_f32 v17, -v17, v29, v18
	v_mul_f32_e32 v32, v24, v28
	v_fma_f32 v35, -v21, v31, v22
	v_fma_f32 v18, -v19, v30, v20
	v_div_fmas_f32 v17, v17, v25, v29
	s_mov_b64 vcc, s[18:19]
	v_fma_f32 v36, -v23, v32, v24
	v_fmac_f32_e32 v31, v35, v27
	v_div_fixup_f32 v19, v17, v9, v7
	v_div_fmas_f32 v17, v18, v26, v30
	v_fmac_f32_e32 v32, v36, v28
	v_fma_f32 v20, -v21, v31, v22
	v_div_fixup_f32 v18, v17, v8, v6
	s_mov_b64 vcc, s[20:21]
	v_fma_f32 v22, -v23, v32, v24
	v_div_fmas_f32 v17, v20, v27, v31
	v_pk_fma_f32 v[18:19], v[18:19], v[18:19], 1.0 op_sel_hi:[1,1,0]
	s_mov_b64 vcc, s[22:23]
	v_div_fixup_f32 v21, v17, v7, v9
	v_div_fmas_f32 v17, v22, v28, v32
	v_mul_f32_e32 v22, 0x4f800000, v19
	v_cmp_gt_f32_e64 s[18:19], s41, v19
	v_mul_f32_e32 v23, 0x4f800000, v18
	v_cmp_gt_f32_e32 vcc, s41, v18
	v_div_fixup_f32 v20, v17, v6, v8
	v_cndmask_b32_e64 v17, v19, v22, s[18:19]
	v_cndmask_b32_e32 v22, v18, v23, vcc
	v_pk_fma_f32 v[18:19], v[20:21], v[20:21], 1.0 op_sel_hi:[1,1,0]
	v_sqrt_f32_e32 v20, v17
	v_sqrt_f32_e32 v21, v22
	v_mul_f32_e32 v23, 0x4f800000, v19
	v_cmp_gt_f32_e64 s[22:23], s41, v19
	v_mul_f32_e32 v24, 0x4f800000, v18
	v_cmp_gt_f32_e64 s[20:21], s41, v18
	v_cndmask_b32_e64 v23, v19, v23, s[22:23]
	v_cndmask_b32_e64 v24, v18, v24, s[20:21]
	v_sqrt_f32_e32 v18, v23
	v_sqrt_f32_e32 v19, v24
	v_add_u32_e32 v25, -1, v20
	v_add_u32_e32 v26, 1, v20
	v_add_u32_e32 v27, -1, v21
	v_fma_f32 v29, -v25, v20, v17
	v_add_u32_e32 v28, 1, v21
	v_fma_f32 v30, -v26, v20, v17
	v_fma_f32 v31, -v27, v21, v22
	v_cmp_ge_f32_e64 s[24:25], 0, v29
	v_fma_f32 v32, -v28, v21, v22
	v_cndmask_b32_e64 v20, v20, v25, s[24:25]
	v_cmp_ge_f32_e64 s[24:25], 0, v31
	v_add_u32_e32 v25, -1, v18
	v_cmp_lt_f32_e64 s[26:27], 0, v30
	v_cndmask_b32_e64 v21, v21, v27, s[24:25]
	v_cmp_lt_f32_e64 s[24:25], 0, v32
	v_add_u32_e32 v29, -1, v19
	v_cndmask_b32_e64 v20, v20, v26, s[26:27]
	v_fma_f32 v26, -v25, v18, v23
	v_add_u32_e32 v27, 1, v18
	v_add_u32_e32 v31, 1, v19
	v_cndmask_b32_e64 v21, v21, v28, s[24:25]
	v_fma_f32 v30, -v29, v19, v24
	v_cmp_ge_f32_e64 s[24:25], 0, v26
	v_fma_f32 v28, -v27, v18, v23
	v_fma_f32 v32, -v31, v19, v24
	v_cndmask_b32_e64 v18, v18, v25, s[24:25]
	v_cmp_ge_f32_e64 s[24:25], 0, v30
	v_mul_f32_e32 v33, 0x37800000, v20
	v_mul_f32_e32 v34, 0x37800000, v21
	v_cndmask_b32_e64 v19, v19, v29, s[24:25]
	v_cmp_lt_f32_e64 s[24:25], 0, v32
	v_cmp_lt_f32_e64 s[26:27], 0, v28
	v_cndmask_b32_e64 v20, v20, v33, s[18:19]
	v_cndmask_b32_e32 v21, v21, v34, vcc
	v_cmp_class_f32_e32 vcc, v22, v15
	v_cndmask_b32_e64 v25, v18, v27, s[26:27]
	v_cndmask_b32_e64 v26, v19, v31, s[24:25]
	v_cmp_class_f32_e64 s[18:19], v17, v15
	v_cndmask_b32_e64 v19, v20, v17, s[18:19]
	v_cndmask_b32_e32 v18, v21, v22, vcc
	v_mul_f32_e32 v17, 0x37800000, v25
	v_mul_f32_e32 v20, 0x37800000, v26
	v_cmp_gt_f32_e64 s[14:15], v6, v8
	v_cmp_gt_f32_e64 s[16:17], v7, v9
	v_cmp_ngt_f32_e64 s[6:7], v7, v9
	v_cmp_ngt_f32_e64 s[8:9], v6, v8
	v_pk_mul_f32 v[8:9], v[8:9], v[18:19]
	v_cndmask_b32_e64 v17, v25, v17, s[22:23]
	v_cndmask_b32_e64 v18, v26, v20, s[20:21]
	v_cmp_class_f32_e32 vcc, v24, v15
	v_cmp_class_f32_e64 s[18:19], v23, v15
	v_cndmask_b32_e64 v19, v17, v23, s[18:19]
	v_cndmask_b32_e32 v18, v18, v24, vcc
	v_pk_mul_f32 v[6:7], v[6:7], v[18:19]
	s_or_b64 vcc, s[16:17], s[10:11]
	s_or_b64 s[14:15], s[14:15], s[12:13]
	v_cndmask_b32_e32 v18, v9, v7, vcc
	s_and_b64 s[10:11], s[6:7], s[10:11]
	v_cndmask_b32_e64 v17, v8, v6, s[14:15]
	s_and_b64 s[12:13], s[8:9], s[12:13]
	v_cndmask_b32_e64 v18, v18, 0, s[10:11]
	v_cndmask_b32_e64 v17, v17, 0, s[12:13]
	v_cmp_lt_f32_e64 s[10:11], s40, v18
	v_cmp_lt_f32_e32 vcc, s33, v17
	s_and_b64 s[12:13], s[10:11], s[6:7]
	s_and_b64 s[8:9], vcc, s[8:9]
	s_and_b64 s[6:7], s[12:13], s[2:3]
	v_cndmask_b32_e64 v7, v7, v9, s[6:7]
	s_and_b64 s[6:7], s[8:9], s[4:5]
	s_xor_b64 s[14:15], s[8:9], -1
	s_xor_b64 s[12:13], s[12:13], -1
	v_cndmask_b32_e64 v6, v6, v8, s[6:7]
	s_or_b64 s[2:3], s[12:13], s[2:3]
	s_or_b64 s[4:5], s[14:15], s[4:5]
	v_cmp_lt_f32_e64 s[6:7], s42, v6
	v_cmp_lt_f32_e64 s[8:9], s42, v7
	s_and_b64 s[4:5], vcc, s[4:5]
	s_and_b64 s[2:3], s[10:11], s[2:3]
	s_and_b64 s[4:5], s[4:5], s[6:7]
	s_and_b64 s[2:3], s[2:3], s[8:9]
	v_cndmask_b32_e64 v6, 0, 1, s[4:5]
	v_cndmask_b32_e64 v7, 0, 1, s[2:3]
	v_add_u32_e32 v1, v1, v7
	s_or_b64 s[38:39], s[0:1], s[38:39]
	v_add_u32_e32 v13, v13, v6
	s_andn2_b64 exec, exec, s[38:39]
	s_cbranch_execnz .LBB14_4
; %bb.5:
	s_or_b64 exec, exec, s[38:39]
	v_cmp_ne_u32_e32 vcc, v11, v12
	v_lshl_add_u32 v0, v12, 3, v0
	v_add_u32_e32 v8, v13, v1
	s_orn2_b64 s[0:1], vcc, exec
.LBB14_6:
	s_or_b64 exec, exec, s[36:37]
	s_and_saveexec_b64 s[4:5], s[0:1]
	s_cbranch_execz .LBB14_26
; %bb.7:
	v_ashrrev_i32_e32 v1, 31, v0
	v_lshlrev_b64 v[4:5], 3, v[0:1]
	s_waitcnt lgkmcnt(0)
	v_mov_b32_e32 v1, s35
	v_add_co_u32_e32 v4, vcc, s34, v4
	v_addc_co_u32_e32 v5, vcc, v1, v5, vcc
	s_mov_b64 s[6:7], 0
	s_mov_b32 s12, 0xf800000
	v_mov_b32_e32 v1, 0x260
	s_mov_b32 s13, 0x800000
	s_branch .LBB14_10
.LBB14_8:                               ;   in Loop: Header=BB14_10 Depth=1
	s_or_b64 exec, exec, s[0:1]
.LBB14_9:                               ;   in Loop: Header=BB14_10 Depth=1
	s_or_b64 exec, exec, s[2:3]
	v_add_u32_e32 v0, 8, v0
	v_cmp_ge_i32_e32 vcc, v0, v10
	s_or_b64 s[6:7], vcc, s[6:7]
	v_add_co_u32_e32 v4, vcc, 64, v4
	v_addc_co_u32_e32 v5, vcc, 0, v5, vcc
	s_andn2_b64 exec, exec, s[6:7]
	s_cbranch_execz .LBB14_25
.LBB14_10:                              ; =>This Inner Loop Header: Depth=1
	global_load_dwordx2 v[6:7], v[4:5], off
                                        ; implicit-def: $vgpr11
	s_waitcnt vmcnt(0)
	v_cmp_gt_f32_e32 vcc, 0, v6
	v_cndmask_b32_e64 v6, v6, -v6, vcc
	v_cmp_gt_f32_e32 vcc, 0, v7
	v_cndmask_b32_e64 v9, v7, -v7, vcc
	v_cmp_ngt_f32_e64 s[0:1], v6, v9
	s_and_saveexec_b64 s[2:3], s[0:1]
	s_xor_b64 s[8:9], exec, s[2:3]
	s_cbranch_execnz .LBB14_13
; %bb.11:                               ;   in Loop: Header=BB14_10 Depth=1
	s_andn2_saveexec_b64 s[8:9], s[8:9]
	s_cbranch_execnz .LBB14_16
.LBB14_12:                              ;   in Loop: Header=BB14_10 Depth=1
	s_or_b64 exec, exec, s[8:9]
	v_cmp_lt_f32_e32 vcc, s33, v11
	s_and_saveexec_b64 s[2:3], vcc
	s_cbranch_execz .LBB14_9
	s_branch .LBB14_17
.LBB14_13:                              ;   in Loop: Header=BB14_10 Depth=1
	v_cmp_neq_f32_e32 vcc, 0, v7
	v_mov_b32_e32 v11, 0
	s_and_saveexec_b64 s[10:11], vcc
	s_cbranch_execz .LBB14_15
; %bb.14:                               ;   in Loop: Header=BB14_10 Depth=1
	v_div_scale_f32 v11, s[2:3], v9, v9, v6
	v_rcp_f32_e32 v12, v11
	v_div_scale_f32 v13, vcc, v6, v9, v6
	v_fma_f32 v14, -v11, v12, 1.0
	v_fmac_f32_e32 v12, v14, v12
	v_mul_f32_e32 v14, v13, v12
	v_fma_f32 v15, -v11, v14, v13
	v_fmac_f32_e32 v14, v15, v12
	v_fma_f32 v11, -v11, v14, v13
	v_div_fmas_f32 v11, v11, v12, v14
	v_div_fixup_f32 v11, v11, v9, v6
	v_fma_f32 v11, v11, v11, 1.0
	v_mul_f32_e32 v12, 0x4f800000, v11
	v_cmp_gt_f32_e32 vcc, s12, v11
	v_cndmask_b32_e32 v11, v11, v12, vcc
	v_sqrt_f32_e32 v12, v11
	v_add_u32_e32 v13, -1, v12
	v_fma_f32 v14, -v13, v12, v11
	v_cmp_ge_f32_e64 s[2:3], 0, v14
	v_add_u32_e32 v14, 1, v12
	v_cndmask_b32_e64 v13, v12, v13, s[2:3]
	v_fma_f32 v12, -v14, v12, v11
	v_cmp_lt_f32_e64 s[2:3], 0, v12
	v_cndmask_b32_e64 v12, v13, v14, s[2:3]
	v_mul_f32_e32 v13, 0x37800000, v12
	v_cndmask_b32_e32 v12, v12, v13, vcc
	v_cmp_class_f32_e32 vcc, v11, v1
	v_cndmask_b32_e32 v11, v12, v11, vcc
	v_mul_f32_e32 v11, v9, v11
.LBB14_15:                              ;   in Loop: Header=BB14_10 Depth=1
	s_or_b64 exec, exec, s[10:11]
	s_andn2_saveexec_b64 s[8:9], s[8:9]
	s_cbranch_execz .LBB14_12
.LBB14_16:                              ;   in Loop: Header=BB14_10 Depth=1
	v_div_scale_f32 v11, s[2:3], v6, v6, v9
	v_rcp_f32_e32 v12, v11
	v_div_scale_f32 v13, vcc, v9, v6, v9
	v_fma_f32 v14, -v11, v12, 1.0
	v_fmac_f32_e32 v12, v14, v12
	v_mul_f32_e32 v14, v13, v12
	v_fma_f32 v15, -v11, v14, v13
	v_fmac_f32_e32 v14, v15, v12
	v_fma_f32 v11, -v11, v14, v13
	v_div_fmas_f32 v11, v11, v12, v14
	v_div_fixup_f32 v11, v11, v6, v9
	v_fma_f32 v11, v11, v11, 1.0
	v_mul_f32_e32 v12, 0x4f800000, v11
	v_cmp_gt_f32_e32 vcc, s12, v11
	v_cndmask_b32_e32 v11, v11, v12, vcc
	v_sqrt_f32_e32 v12, v11
	v_add_u32_e32 v13, -1, v12
	v_fma_f32 v14, -v13, v12, v11
	v_cmp_ge_f32_e64 s[2:3], 0, v14
	v_add_u32_e32 v14, 1, v12
	v_cndmask_b32_e64 v13, v12, v13, s[2:3]
	v_fma_f32 v12, -v14, v12, v11
	v_cmp_lt_f32_e64 s[2:3], 0, v12
	v_cndmask_b32_e64 v12, v13, v14, s[2:3]
	v_mul_f32_e32 v13, 0x37800000, v12
	v_cndmask_b32_e32 v12, v12, v13, vcc
	v_cmp_class_f32_e32 vcc, v11, v1
	v_cndmask_b32_e32 v11, v12, v11, vcc
	v_mul_f32_e32 v11, v6, v11
	s_or_b64 exec, exec, s[8:9]
	v_cmp_lt_f32_e32 vcc, s33, v11
	s_and_saveexec_b64 s[2:3], vcc
	s_cbranch_execz .LBB14_9
.LBB14_17:                              ;   in Loop: Header=BB14_10 Depth=1
                                        ; implicit-def: $vgpr11
	s_and_saveexec_b64 s[8:9], s[0:1]
	s_xor_b64 s[8:9], exec, s[8:9]
	s_cbranch_execnz .LBB14_20
; %bb.18:                               ;   in Loop: Header=BB14_10 Depth=1
	s_andn2_saveexec_b64 s[8:9], s[8:9]
	s_cbranch_execnz .LBB14_23
.LBB14_19:                              ;   in Loop: Header=BB14_10 Depth=1
	s_or_b64 exec, exec, s[8:9]
	v_cmp_lt_f32_e32 vcc, s13, v11
	s_and_saveexec_b64 s[0:1], vcc
	s_cbranch_execz .LBB14_8
	s_branch .LBB14_24
.LBB14_20:                              ;   in Loop: Header=BB14_10 Depth=1
	v_cmp_neq_f32_e32 vcc, 0, v7
	v_mov_b32_e32 v11, 0
	s_and_saveexec_b64 s[10:11], vcc
	s_cbranch_execz .LBB14_22
; %bb.21:                               ;   in Loop: Header=BB14_10 Depth=1
	v_div_scale_f32 v7, s[0:1], v9, v9, v6
	v_rcp_f32_e32 v11, v7
	v_div_scale_f32 v12, vcc, v6, v9, v6
	v_fma_f32 v13, -v7, v11, 1.0
	v_fmac_f32_e32 v11, v13, v11
	v_mul_f32_e32 v13, v12, v11
	v_fma_f32 v14, -v7, v13, v12
	v_fmac_f32_e32 v13, v14, v11
	v_fma_f32 v7, -v7, v13, v12
	v_div_fmas_f32 v7, v7, v11, v13
	v_div_fixup_f32 v6, v7, v9, v6
	v_fma_f32 v6, v6, v6, 1.0
	v_mul_f32_e32 v7, 0x4f800000, v6
	v_cmp_gt_f32_e32 vcc, s12, v6
	v_cndmask_b32_e32 v6, v6, v7, vcc
	v_sqrt_f32_e32 v7, v6
	v_add_u32_e32 v11, -1, v7
	v_fma_f32 v12, -v11, v7, v6
	v_cmp_ge_f32_e64 s[0:1], 0, v12
	v_add_u32_e32 v12, 1, v7
	v_cndmask_b32_e64 v11, v7, v11, s[0:1]
	v_fma_f32 v7, -v12, v7, v6
	v_cmp_lt_f32_e64 s[0:1], 0, v7
	v_cndmask_b32_e64 v7, v11, v12, s[0:1]
	v_mul_f32_e32 v11, 0x37800000, v7
	v_cndmask_b32_e32 v7, v7, v11, vcc
	v_cmp_class_f32_e32 vcc, v6, v1
	v_cndmask_b32_e32 v6, v7, v6, vcc
	v_mul_f32_e32 v11, v9, v6
.LBB14_22:                              ;   in Loop: Header=BB14_10 Depth=1
	s_or_b64 exec, exec, s[10:11]
                                        ; implicit-def: $vgpr6
                                        ; implicit-def: $vgpr9
	s_andn2_saveexec_b64 s[8:9], s[8:9]
	s_cbranch_execz .LBB14_19
.LBB14_23:                              ;   in Loop: Header=BB14_10 Depth=1
	v_div_scale_f32 v7, s[0:1], v6, v6, v9
	v_rcp_f32_e32 v11, v7
	v_div_scale_f32 v12, vcc, v9, v6, v9
	v_fma_f32 v13, -v7, v11, 1.0
	v_fmac_f32_e32 v11, v13, v11
	v_mul_f32_e32 v13, v12, v11
	v_fma_f32 v14, -v7, v13, v12
	v_fmac_f32_e32 v13, v14, v11
	v_fma_f32 v7, -v7, v13, v12
	v_div_fmas_f32 v7, v7, v11, v13
	v_div_fixup_f32 v7, v7, v6, v9
	v_fma_f32 v7, v7, v7, 1.0
	v_mul_f32_e32 v9, 0x4f800000, v7
	v_cmp_gt_f32_e32 vcc, s12, v7
	v_cndmask_b32_e32 v7, v7, v9, vcc
	v_sqrt_f32_e32 v9, v7
	v_add_u32_e32 v11, -1, v9
	v_fma_f32 v12, -v11, v9, v7
	v_cmp_ge_f32_e64 s[0:1], 0, v12
	v_add_u32_e32 v12, 1, v9
	v_cndmask_b32_e64 v11, v9, v11, s[0:1]
	v_fma_f32 v9, -v12, v9, v7
	v_cmp_lt_f32_e64 s[0:1], 0, v9
	v_cndmask_b32_e64 v9, v11, v12, s[0:1]
	v_mul_f32_e32 v11, 0x37800000, v9
	v_cndmask_b32_e32 v9, v9, v11, vcc
	v_cmp_class_f32_e32 vcc, v7, v1
	v_cndmask_b32_e32 v7, v9, v7, vcc
	v_mul_f32_e32 v11, v6, v7
	s_or_b64 exec, exec, s[8:9]
	v_cmp_lt_f32_e32 vcc, s13, v11
	s_and_saveexec_b64 s[0:1], vcc
	s_cbranch_execz .LBB14_8
.LBB14_24:                              ;   in Loop: Header=BB14_10 Depth=1
	v_add_u32_e32 v8, 1, v8
	s_branch .LBB14_8
.LBB14_25:
	s_or_b64 exec, exec, s[6:7]
.LBB14_26:
	s_or_b64 exec, exec, s[4:5]
.LBB14_27:
	s_or_b64 exec, exec, s[28:29]
	v_mov_b32_dpp v0, v8 row_shr:1 row_mask:0xf bank_mask:0xf
	v_add_u32_e32 v0, v0, v8
	s_nop 1
	v_mov_b32_dpp v1, v0 row_shr:2 row_mask:0xf bank_mask:0xf
	v_add_u32_e32 v0, v0, v1
	s_nop 1
	v_mov_b32_dpp v1, v0 row_shr:4 row_mask:0xf bank_mask:0xe
	v_add_u32_e32 v0, v0, v1
	v_mbcnt_lo_u32_b32 v1, -1, 0
	v_mbcnt_hi_u32_b32 v1, -1, v1
	v_lshl_or_b32 v1, v1, 2, 28
	ds_bpermute_b32 v4, v1, v0
	v_mov_b32_e32 v1, s31
	v_add_co_u32_e32 v0, vcc, s30, v2
	v_addc_co_u32_e32 v1, vcc, v1, v3, vcc
	s_waitcnt lgkmcnt(0)
	global_store_dword v[0:1], v4, off
.LBB14_28:
	s_endpgm
	.section	.rodata,"a",@progbits
	.p2align	6, 0x0
	.amdhsa_kernel _ZN9rocsparseL19nnz_compress_kernelILi1024ELi128ELi8E21rocsparse_complex_numIfEEEvi21rocsparse_index_base_PKT2_PKiPiS4_
		.amdhsa_group_segment_fixed_size 0
		.amdhsa_private_segment_fixed_size 0
		.amdhsa_kernarg_size 40
		.amdhsa_user_sgpr_count 6
		.amdhsa_user_sgpr_private_segment_buffer 1
		.amdhsa_user_sgpr_dispatch_ptr 0
		.amdhsa_user_sgpr_queue_ptr 0
		.amdhsa_user_sgpr_kernarg_segment_ptr 1
		.amdhsa_user_sgpr_dispatch_id 0
		.amdhsa_user_sgpr_flat_scratch_init 0
		.amdhsa_user_sgpr_kernarg_preload_length 0
		.amdhsa_user_sgpr_kernarg_preload_offset 0
		.amdhsa_user_sgpr_private_segment_size 0
		.amdhsa_uses_dynamic_stack 0
		.amdhsa_system_sgpr_private_segment_wavefront_offset 0
		.amdhsa_system_sgpr_workgroup_id_x 1
		.amdhsa_system_sgpr_workgroup_id_y 0
		.amdhsa_system_sgpr_workgroup_id_z 0
		.amdhsa_system_sgpr_workgroup_info 0
		.amdhsa_system_vgpr_workitem_id 0
		.amdhsa_next_free_vgpr 37
		.amdhsa_next_free_sgpr 43
		.amdhsa_accum_offset 40
		.amdhsa_reserve_vcc 1
		.amdhsa_reserve_flat_scratch 0
		.amdhsa_float_round_mode_32 0
		.amdhsa_float_round_mode_16_64 0
		.amdhsa_float_denorm_mode_32 3
		.amdhsa_float_denorm_mode_16_64 3
		.amdhsa_dx10_clamp 1
		.amdhsa_ieee_mode 1
		.amdhsa_fp16_overflow 0
		.amdhsa_tg_split 0
		.amdhsa_exception_fp_ieee_invalid_op 0
		.amdhsa_exception_fp_denorm_src 0
		.amdhsa_exception_fp_ieee_div_zero 0
		.amdhsa_exception_fp_ieee_overflow 0
		.amdhsa_exception_fp_ieee_underflow 0
		.amdhsa_exception_fp_ieee_inexact 0
		.amdhsa_exception_int_div_zero 0
	.end_amdhsa_kernel
	.section	.text._ZN9rocsparseL19nnz_compress_kernelILi1024ELi128ELi8E21rocsparse_complex_numIfEEEvi21rocsparse_index_base_PKT2_PKiPiS4_,"axG",@progbits,_ZN9rocsparseL19nnz_compress_kernelILi1024ELi128ELi8E21rocsparse_complex_numIfEEEvi21rocsparse_index_base_PKT2_PKiPiS4_,comdat
.Lfunc_end14:
	.size	_ZN9rocsparseL19nnz_compress_kernelILi1024ELi128ELi8E21rocsparse_complex_numIfEEEvi21rocsparse_index_base_PKT2_PKiPiS4_, .Lfunc_end14-_ZN9rocsparseL19nnz_compress_kernelILi1024ELi128ELi8E21rocsparse_complex_numIfEEEvi21rocsparse_index_base_PKT2_PKiPiS4_
                                        ; -- End function
	.section	.AMDGPU.csdata,"",@progbits
; Kernel info:
; codeLenInByte = 2596
; NumSgprs: 47
; NumVgprs: 37
; NumAgprs: 0
; TotalNumVgprs: 37
; ScratchSize: 0
; MemoryBound: 0
; FloatMode: 240
; IeeeMode: 1
; LDSByteSize: 0 bytes/workgroup (compile time only)
; SGPRBlocks: 5
; VGPRBlocks: 4
; NumSGPRsForWavesPerEU: 47
; NumVGPRsForWavesPerEU: 37
; AccumOffset: 40
; Occupancy: 8
; WaveLimiterHint : 0
; COMPUTE_PGM_RSRC2:SCRATCH_EN: 0
; COMPUTE_PGM_RSRC2:USER_SGPR: 6
; COMPUTE_PGM_RSRC2:TRAP_HANDLER: 0
; COMPUTE_PGM_RSRC2:TGID_X_EN: 1
; COMPUTE_PGM_RSRC2:TGID_Y_EN: 0
; COMPUTE_PGM_RSRC2:TGID_Z_EN: 0
; COMPUTE_PGM_RSRC2:TIDIG_COMP_CNT: 0
; COMPUTE_PGM_RSRC3_GFX90A:ACCUM_OFFSET: 9
; COMPUTE_PGM_RSRC3_GFX90A:TG_SPLIT: 0
	.section	.text._ZN9rocsparseL19nnz_compress_kernelILi1024ELi64ELi16E21rocsparse_complex_numIfEEEvi21rocsparse_index_base_PKT2_PKiPiS4_,"axG",@progbits,_ZN9rocsparseL19nnz_compress_kernelILi1024ELi64ELi16E21rocsparse_complex_numIfEEEvi21rocsparse_index_base_PKT2_PKiPiS4_,comdat
	.globl	_ZN9rocsparseL19nnz_compress_kernelILi1024ELi64ELi16E21rocsparse_complex_numIfEEEvi21rocsparse_index_base_PKT2_PKiPiS4_ ; -- Begin function _ZN9rocsparseL19nnz_compress_kernelILi1024ELi64ELi16E21rocsparse_complex_numIfEEEvi21rocsparse_index_base_PKT2_PKiPiS4_
	.p2align	8
	.type	_ZN9rocsparseL19nnz_compress_kernelILi1024ELi64ELi16E21rocsparse_complex_numIfEEEvi21rocsparse_index_base_PKT2_PKiPiS4_,@function
_ZN9rocsparseL19nnz_compress_kernelILi1024ELi64ELi16E21rocsparse_complex_numIfEEEvi21rocsparse_index_base_PKT2_PKiPiS4_: ; @_ZN9rocsparseL19nnz_compress_kernelILi1024ELi64ELi16E21rocsparse_complex_numIfEEEvi21rocsparse_index_base_PKT2_PKiPiS4_
; %bb.0:
	s_load_dwordx2 s[0:1], s[4:5], 0x0
	v_lshrrev_b32_e32 v1, 4, v0
	v_lshl_or_b32 v2, s6, 6, v1
	s_waitcnt lgkmcnt(0)
	v_cmp_gt_i32_e32 vcc, s0, v2
	s_and_saveexec_b64 s[2:3], vcc
	s_cbranch_execz .LBB15_28
; %bb.1:
	s_load_dwordx4 s[28:31], s[4:5], 0x10
	v_ashrrev_i32_e32 v3, 31, v2
	v_lshlrev_b64 v[2:3], 2, v[2:3]
	v_mov_b32_e32 v8, 0
	s_waitcnt lgkmcnt(0)
	v_mov_b32_e32 v1, s29
	v_add_co_u32_e32 v4, vcc, s28, v2
	v_addc_co_u32_e32 v5, vcc, v1, v3, vcc
	global_load_dwordx2 v[4:5], v[4:5], off
	v_and_b32_e32 v1, 15, v0
	v_subrev_u32_e32 v0, s1, v1
	s_waitcnt vmcnt(0)
	v_subrev_u32_e32 v10, s1, v5
	v_add_u32_e32 v0, v4, v0
	v_cmp_lt_i32_e32 vcc, v0, v10
	s_and_saveexec_b64 s[28:29], vcc
	s_cbranch_execz .LBB15_27
; %bb.2:
	v_add_u32_e32 v5, v4, v1
	v_subrev_u32_e32 v5, s1, v5
	s_load_dwordx2 s[34:35], s[4:5], 0x8
	s_load_dword s33, s[4:5], 0x20
	v_add_u32_e32 v5, 16, v5
	v_max_i32_e32 v5, v5, v10
	v_not_b32_e32 v4, v4
	v_add3_u32 v4, v5, s1, v4
	v_sub_u32_e32 v1, v4, v1
	v_cmp_lt_u32_e32 vcc, 15, v1
	s_mov_b64 s[0:1], -1
	v_mov_b32_e32 v8, 0
	s_and_saveexec_b64 s[36:37], vcc
	s_cbranch_execz .LBB15_6
; %bb.3:
	v_lshrrev_b32_e32 v1, 4, v1
	v_add_u32_e32 v11, 1, v1
	v_and_b32_e32 v12, 0x1ffffffe, v11
	v_add_u32_e32 v1, 16, v0
	s_waitcnt lgkmcnt(0)
	s_mov_b32 s40, s33
	s_mov_b64 s[38:39], 0
	v_mov_b32_e32 v13, 0
	v_mov_b32_e32 v14, s35
	s_mov_b32 s41, 0xf800000
	v_mov_b32_e32 v15, 0x260
	s_mov_b32 s42, 0x800000
	v_mov_b32_e32 v16, v12
	v_pk_mov_b32 v[4:5], v[0:1], v[0:1] op_sel:[0,1]
	v_mov_b32_e32 v1, 0
.LBB15_4:                               ; =>This Inner Loop Header: Depth=1
	v_ashrrev_i32_e32 v9, 31, v4
	v_mov_b32_e32 v8, v4
	v_lshlrev_b64 v[8:9], 3, v[8:9]
	v_ashrrev_i32_e32 v7, 31, v5
	v_mov_b32_e32 v6, v5
	v_add_co_u32_e32 v8, vcc, s34, v8
	v_lshlrev_b64 v[6:7], 3, v[6:7]
	v_addc_co_u32_e32 v9, vcc, v14, v9, vcc
	v_add_co_u32_e32 v6, vcc, s34, v6
	v_addc_co_u32_e32 v7, vcc, v14, v7, vcc
	global_load_dwordx2 v[18:19], v[6:7], off
	global_load_dwordx2 v[20:21], v[8:9], off
	v_add_u32_e32 v16, -2, v16
	v_cmp_eq_u32_e64 s[0:1], 0, v16
	v_add_u32_e32 v5, 32, v5
	v_add_u32_e32 v4, 32, v4
	s_waitcnt vmcnt(1)
	v_cmp_gt_f32_e32 vcc, 0, v18
	v_cndmask_b32_e64 v7, v18, -v18, vcc
	s_waitcnt vmcnt(0)
	v_cmp_gt_f32_e32 vcc, 0, v20
	v_cndmask_b32_e64 v6, v20, -v20, vcc
	v_cmp_gt_f32_e32 vcc, 0, v19
	v_cndmask_b32_e64 v9, v19, -v19, vcc
	;; [unrolled: 2-line block ×3, first 2 shown]
	v_div_scale_f32 v17, s[18:19], v9, v9, v7
	v_cmp_eq_f32_e64 s[10:11], 0, v19
	v_cmp_neq_f32_e64 s[2:3], 0, v19
	v_div_scale_f32 v19, s[18:19], v8, v8, v6
	v_rcp_f32_e32 v25, v17
	v_rcp_f32_e32 v26, v19
	v_cmp_eq_f32_e64 s[12:13], 0, v21
	v_cmp_neq_f32_e64 s[4:5], 0, v21
	v_div_scale_f32 v21, s[20:21], v7, v7, v9
	v_div_scale_f32 v23, s[22:23], v6, v6, v8
	v_rcp_f32_e32 v27, v21
	v_rcp_f32_e32 v28, v23
	v_fma_f32 v29, -v17, v25, 1.0
	v_div_scale_f32 v18, vcc, v7, v9, v7
	v_fma_f32 v30, -v19, v26, 1.0
	v_fmac_f32_e32 v25, v29, v25
	v_div_scale_f32 v20, s[18:19], v6, v8, v6
	v_fmac_f32_e32 v26, v30, v26
	v_mul_f32_e32 v29, v18, v25
	v_fma_f32 v31, -v21, v27, 1.0
	v_mul_f32_e32 v30, v20, v26
	v_fma_f32 v33, -v17, v29, v18
	v_div_scale_f32 v22, s[20:21], v9, v7, v9
	v_fma_f32 v32, -v23, v28, 1.0
	v_fmac_f32_e32 v27, v31, v27
	v_fma_f32 v34, -v19, v30, v20
	v_fmac_f32_e32 v29, v33, v25
	v_div_scale_f32 v24, s[22:23], v8, v6, v8
	v_fmac_f32_e32 v28, v32, v28
	v_mul_f32_e32 v31, v22, v27
	v_fmac_f32_e32 v30, v34, v26
	v_fma_f32 v17, -v17, v29, v18
	v_mul_f32_e32 v32, v24, v28
	v_fma_f32 v35, -v21, v31, v22
	v_fma_f32 v18, -v19, v30, v20
	v_div_fmas_f32 v17, v17, v25, v29
	s_mov_b64 vcc, s[18:19]
	v_fma_f32 v36, -v23, v32, v24
	v_fmac_f32_e32 v31, v35, v27
	v_div_fixup_f32 v19, v17, v9, v7
	v_div_fmas_f32 v17, v18, v26, v30
	v_fmac_f32_e32 v32, v36, v28
	v_fma_f32 v20, -v21, v31, v22
	v_div_fixup_f32 v18, v17, v8, v6
	s_mov_b64 vcc, s[20:21]
	v_fma_f32 v22, -v23, v32, v24
	v_div_fmas_f32 v17, v20, v27, v31
	v_pk_fma_f32 v[18:19], v[18:19], v[18:19], 1.0 op_sel_hi:[1,1,0]
	s_mov_b64 vcc, s[22:23]
	v_div_fixup_f32 v21, v17, v7, v9
	v_div_fmas_f32 v17, v22, v28, v32
	v_mul_f32_e32 v22, 0x4f800000, v19
	v_cmp_gt_f32_e64 s[18:19], s41, v19
	v_mul_f32_e32 v23, 0x4f800000, v18
	v_cmp_gt_f32_e32 vcc, s41, v18
	v_div_fixup_f32 v20, v17, v6, v8
	v_cndmask_b32_e64 v17, v19, v22, s[18:19]
	v_cndmask_b32_e32 v22, v18, v23, vcc
	v_pk_fma_f32 v[18:19], v[20:21], v[20:21], 1.0 op_sel_hi:[1,1,0]
	v_sqrt_f32_e32 v20, v17
	v_sqrt_f32_e32 v21, v22
	v_mul_f32_e32 v23, 0x4f800000, v19
	v_cmp_gt_f32_e64 s[22:23], s41, v19
	v_mul_f32_e32 v24, 0x4f800000, v18
	v_cmp_gt_f32_e64 s[20:21], s41, v18
	v_cndmask_b32_e64 v23, v19, v23, s[22:23]
	v_cndmask_b32_e64 v24, v18, v24, s[20:21]
	v_sqrt_f32_e32 v18, v23
	v_sqrt_f32_e32 v19, v24
	v_add_u32_e32 v25, -1, v20
	v_add_u32_e32 v26, 1, v20
	v_add_u32_e32 v27, -1, v21
	v_fma_f32 v29, -v25, v20, v17
	v_add_u32_e32 v28, 1, v21
	v_fma_f32 v30, -v26, v20, v17
	v_fma_f32 v31, -v27, v21, v22
	v_cmp_ge_f32_e64 s[24:25], 0, v29
	v_fma_f32 v32, -v28, v21, v22
	v_cndmask_b32_e64 v20, v20, v25, s[24:25]
	v_cmp_ge_f32_e64 s[24:25], 0, v31
	v_add_u32_e32 v25, -1, v18
	v_cmp_lt_f32_e64 s[26:27], 0, v30
	v_cndmask_b32_e64 v21, v21, v27, s[24:25]
	v_cmp_lt_f32_e64 s[24:25], 0, v32
	v_add_u32_e32 v29, -1, v19
	v_cndmask_b32_e64 v20, v20, v26, s[26:27]
	v_fma_f32 v26, -v25, v18, v23
	v_add_u32_e32 v27, 1, v18
	v_add_u32_e32 v31, 1, v19
	v_cndmask_b32_e64 v21, v21, v28, s[24:25]
	v_fma_f32 v30, -v29, v19, v24
	v_cmp_ge_f32_e64 s[24:25], 0, v26
	v_fma_f32 v28, -v27, v18, v23
	v_fma_f32 v32, -v31, v19, v24
	v_cndmask_b32_e64 v18, v18, v25, s[24:25]
	v_cmp_ge_f32_e64 s[24:25], 0, v30
	v_mul_f32_e32 v33, 0x37800000, v20
	v_mul_f32_e32 v34, 0x37800000, v21
	v_cndmask_b32_e64 v19, v19, v29, s[24:25]
	v_cmp_lt_f32_e64 s[24:25], 0, v32
	v_cmp_lt_f32_e64 s[26:27], 0, v28
	v_cndmask_b32_e64 v20, v20, v33, s[18:19]
	v_cndmask_b32_e32 v21, v21, v34, vcc
	v_cmp_class_f32_e32 vcc, v22, v15
	v_cndmask_b32_e64 v25, v18, v27, s[26:27]
	v_cndmask_b32_e64 v26, v19, v31, s[24:25]
	v_cmp_class_f32_e64 s[18:19], v17, v15
	v_cndmask_b32_e64 v19, v20, v17, s[18:19]
	v_cndmask_b32_e32 v18, v21, v22, vcc
	v_mul_f32_e32 v17, 0x37800000, v25
	v_mul_f32_e32 v20, 0x37800000, v26
	v_cmp_gt_f32_e64 s[14:15], v6, v8
	v_cmp_gt_f32_e64 s[16:17], v7, v9
	v_cmp_ngt_f32_e64 s[6:7], v7, v9
	v_cmp_ngt_f32_e64 s[8:9], v6, v8
	v_pk_mul_f32 v[8:9], v[8:9], v[18:19]
	v_cndmask_b32_e64 v17, v25, v17, s[22:23]
	v_cndmask_b32_e64 v18, v26, v20, s[20:21]
	v_cmp_class_f32_e32 vcc, v24, v15
	v_cmp_class_f32_e64 s[18:19], v23, v15
	v_cndmask_b32_e64 v19, v17, v23, s[18:19]
	v_cndmask_b32_e32 v18, v18, v24, vcc
	v_pk_mul_f32 v[6:7], v[6:7], v[18:19]
	s_or_b64 vcc, s[16:17], s[10:11]
	s_or_b64 s[14:15], s[14:15], s[12:13]
	v_cndmask_b32_e32 v18, v9, v7, vcc
	s_and_b64 s[10:11], s[6:7], s[10:11]
	v_cndmask_b32_e64 v17, v8, v6, s[14:15]
	s_and_b64 s[12:13], s[8:9], s[12:13]
	v_cndmask_b32_e64 v18, v18, 0, s[10:11]
	v_cndmask_b32_e64 v17, v17, 0, s[12:13]
	v_cmp_lt_f32_e64 s[10:11], s40, v18
	v_cmp_lt_f32_e32 vcc, s33, v17
	s_and_b64 s[12:13], s[10:11], s[6:7]
	s_and_b64 s[8:9], vcc, s[8:9]
	s_and_b64 s[6:7], s[12:13], s[2:3]
	v_cndmask_b32_e64 v7, v7, v9, s[6:7]
	s_and_b64 s[6:7], s[8:9], s[4:5]
	s_xor_b64 s[14:15], s[8:9], -1
	s_xor_b64 s[12:13], s[12:13], -1
	v_cndmask_b32_e64 v6, v6, v8, s[6:7]
	s_or_b64 s[2:3], s[12:13], s[2:3]
	s_or_b64 s[4:5], s[14:15], s[4:5]
	v_cmp_lt_f32_e64 s[6:7], s42, v6
	v_cmp_lt_f32_e64 s[8:9], s42, v7
	s_and_b64 s[4:5], vcc, s[4:5]
	s_and_b64 s[2:3], s[10:11], s[2:3]
	s_and_b64 s[4:5], s[4:5], s[6:7]
	;; [unrolled: 1-line block ×3, first 2 shown]
	v_cndmask_b32_e64 v6, 0, 1, s[4:5]
	v_cndmask_b32_e64 v7, 0, 1, s[2:3]
	v_add_u32_e32 v1, v1, v7
	s_or_b64 s[38:39], s[0:1], s[38:39]
	v_add_u32_e32 v13, v13, v6
	s_andn2_b64 exec, exec, s[38:39]
	s_cbranch_execnz .LBB15_4
; %bb.5:
	s_or_b64 exec, exec, s[38:39]
	v_cmp_ne_u32_e32 vcc, v11, v12
	v_lshl_add_u32 v0, v12, 4, v0
	v_add_u32_e32 v8, v13, v1
	s_orn2_b64 s[0:1], vcc, exec
.LBB15_6:
	s_or_b64 exec, exec, s[36:37]
	s_and_saveexec_b64 s[4:5], s[0:1]
	s_cbranch_execz .LBB15_26
; %bb.7:
	v_ashrrev_i32_e32 v1, 31, v0
	v_lshlrev_b64 v[4:5], 3, v[0:1]
	s_waitcnt lgkmcnt(0)
	v_mov_b32_e32 v1, s35
	v_add_co_u32_e32 v4, vcc, s34, v4
	v_addc_co_u32_e32 v5, vcc, v1, v5, vcc
	s_mov_b64 s[6:7], 0
	s_mov_b32 s12, 0xf800000
	v_mov_b32_e32 v1, 0x260
	s_mov_b32 s13, 0x800000
	s_branch .LBB15_10
.LBB15_8:                               ;   in Loop: Header=BB15_10 Depth=1
	s_or_b64 exec, exec, s[0:1]
.LBB15_9:                               ;   in Loop: Header=BB15_10 Depth=1
	s_or_b64 exec, exec, s[2:3]
	v_add_u32_e32 v0, 16, v0
	v_add_co_u32_e32 v4, vcc, 0x80, v4
	v_cmp_ge_i32_e64 s[0:1], v0, v10
	s_or_b64 s[6:7], s[0:1], s[6:7]
	v_addc_co_u32_e32 v5, vcc, 0, v5, vcc
	s_andn2_b64 exec, exec, s[6:7]
	s_cbranch_execz .LBB15_25
.LBB15_10:                              ; =>This Inner Loop Header: Depth=1
	global_load_dwordx2 v[6:7], v[4:5], off
                                        ; implicit-def: $vgpr11
	s_waitcnt vmcnt(0)
	v_cmp_gt_f32_e32 vcc, 0, v6
	v_cndmask_b32_e64 v6, v6, -v6, vcc
	v_cmp_gt_f32_e32 vcc, 0, v7
	v_cndmask_b32_e64 v9, v7, -v7, vcc
	v_cmp_ngt_f32_e64 s[0:1], v6, v9
	s_and_saveexec_b64 s[2:3], s[0:1]
	s_xor_b64 s[8:9], exec, s[2:3]
	s_cbranch_execnz .LBB15_13
; %bb.11:                               ;   in Loop: Header=BB15_10 Depth=1
	s_andn2_saveexec_b64 s[8:9], s[8:9]
	s_cbranch_execnz .LBB15_16
.LBB15_12:                              ;   in Loop: Header=BB15_10 Depth=1
	s_or_b64 exec, exec, s[8:9]
	v_cmp_lt_f32_e32 vcc, s33, v11
	s_and_saveexec_b64 s[2:3], vcc
	s_cbranch_execz .LBB15_9
	s_branch .LBB15_17
.LBB15_13:                              ;   in Loop: Header=BB15_10 Depth=1
	v_cmp_neq_f32_e32 vcc, 0, v7
	v_mov_b32_e32 v11, 0
	s_and_saveexec_b64 s[10:11], vcc
	s_cbranch_execz .LBB15_15
; %bb.14:                               ;   in Loop: Header=BB15_10 Depth=1
	v_div_scale_f32 v11, s[2:3], v9, v9, v6
	v_rcp_f32_e32 v12, v11
	v_div_scale_f32 v13, vcc, v6, v9, v6
	v_fma_f32 v14, -v11, v12, 1.0
	v_fmac_f32_e32 v12, v14, v12
	v_mul_f32_e32 v14, v13, v12
	v_fma_f32 v15, -v11, v14, v13
	v_fmac_f32_e32 v14, v15, v12
	v_fma_f32 v11, -v11, v14, v13
	v_div_fmas_f32 v11, v11, v12, v14
	v_div_fixup_f32 v11, v11, v9, v6
	v_fma_f32 v11, v11, v11, 1.0
	v_mul_f32_e32 v12, 0x4f800000, v11
	v_cmp_gt_f32_e32 vcc, s12, v11
	v_cndmask_b32_e32 v11, v11, v12, vcc
	v_sqrt_f32_e32 v12, v11
	v_add_u32_e32 v13, -1, v12
	v_fma_f32 v14, -v13, v12, v11
	v_cmp_ge_f32_e64 s[2:3], 0, v14
	v_add_u32_e32 v14, 1, v12
	v_cndmask_b32_e64 v13, v12, v13, s[2:3]
	v_fma_f32 v12, -v14, v12, v11
	v_cmp_lt_f32_e64 s[2:3], 0, v12
	v_cndmask_b32_e64 v12, v13, v14, s[2:3]
	v_mul_f32_e32 v13, 0x37800000, v12
	v_cndmask_b32_e32 v12, v12, v13, vcc
	v_cmp_class_f32_e32 vcc, v11, v1
	v_cndmask_b32_e32 v11, v12, v11, vcc
	v_mul_f32_e32 v11, v9, v11
.LBB15_15:                              ;   in Loop: Header=BB15_10 Depth=1
	s_or_b64 exec, exec, s[10:11]
	s_andn2_saveexec_b64 s[8:9], s[8:9]
	s_cbranch_execz .LBB15_12
.LBB15_16:                              ;   in Loop: Header=BB15_10 Depth=1
	v_div_scale_f32 v11, s[2:3], v6, v6, v9
	v_rcp_f32_e32 v12, v11
	v_div_scale_f32 v13, vcc, v9, v6, v9
	v_fma_f32 v14, -v11, v12, 1.0
	v_fmac_f32_e32 v12, v14, v12
	v_mul_f32_e32 v14, v13, v12
	v_fma_f32 v15, -v11, v14, v13
	v_fmac_f32_e32 v14, v15, v12
	v_fma_f32 v11, -v11, v14, v13
	v_div_fmas_f32 v11, v11, v12, v14
	v_div_fixup_f32 v11, v11, v6, v9
	v_fma_f32 v11, v11, v11, 1.0
	v_mul_f32_e32 v12, 0x4f800000, v11
	v_cmp_gt_f32_e32 vcc, s12, v11
	v_cndmask_b32_e32 v11, v11, v12, vcc
	v_sqrt_f32_e32 v12, v11
	v_add_u32_e32 v13, -1, v12
	v_fma_f32 v14, -v13, v12, v11
	v_cmp_ge_f32_e64 s[2:3], 0, v14
	v_add_u32_e32 v14, 1, v12
	v_cndmask_b32_e64 v13, v12, v13, s[2:3]
	v_fma_f32 v12, -v14, v12, v11
	v_cmp_lt_f32_e64 s[2:3], 0, v12
	v_cndmask_b32_e64 v12, v13, v14, s[2:3]
	v_mul_f32_e32 v13, 0x37800000, v12
	v_cndmask_b32_e32 v12, v12, v13, vcc
	v_cmp_class_f32_e32 vcc, v11, v1
	v_cndmask_b32_e32 v11, v12, v11, vcc
	v_mul_f32_e32 v11, v6, v11
	s_or_b64 exec, exec, s[8:9]
	v_cmp_lt_f32_e32 vcc, s33, v11
	s_and_saveexec_b64 s[2:3], vcc
	s_cbranch_execz .LBB15_9
.LBB15_17:                              ;   in Loop: Header=BB15_10 Depth=1
                                        ; implicit-def: $vgpr11
	s_and_saveexec_b64 s[8:9], s[0:1]
	s_xor_b64 s[8:9], exec, s[8:9]
	s_cbranch_execnz .LBB15_20
; %bb.18:                               ;   in Loop: Header=BB15_10 Depth=1
	s_andn2_saveexec_b64 s[8:9], s[8:9]
	s_cbranch_execnz .LBB15_23
.LBB15_19:                              ;   in Loop: Header=BB15_10 Depth=1
	s_or_b64 exec, exec, s[8:9]
	v_cmp_lt_f32_e32 vcc, s13, v11
	s_and_saveexec_b64 s[0:1], vcc
	s_cbranch_execz .LBB15_8
	s_branch .LBB15_24
.LBB15_20:                              ;   in Loop: Header=BB15_10 Depth=1
	v_cmp_neq_f32_e32 vcc, 0, v7
	v_mov_b32_e32 v11, 0
	s_and_saveexec_b64 s[10:11], vcc
	s_cbranch_execz .LBB15_22
; %bb.21:                               ;   in Loop: Header=BB15_10 Depth=1
	v_div_scale_f32 v7, s[0:1], v9, v9, v6
	v_rcp_f32_e32 v11, v7
	v_div_scale_f32 v12, vcc, v6, v9, v6
	v_fma_f32 v13, -v7, v11, 1.0
	v_fmac_f32_e32 v11, v13, v11
	v_mul_f32_e32 v13, v12, v11
	v_fma_f32 v14, -v7, v13, v12
	v_fmac_f32_e32 v13, v14, v11
	v_fma_f32 v7, -v7, v13, v12
	v_div_fmas_f32 v7, v7, v11, v13
	v_div_fixup_f32 v6, v7, v9, v6
	v_fma_f32 v6, v6, v6, 1.0
	v_mul_f32_e32 v7, 0x4f800000, v6
	v_cmp_gt_f32_e32 vcc, s12, v6
	v_cndmask_b32_e32 v6, v6, v7, vcc
	v_sqrt_f32_e32 v7, v6
	v_add_u32_e32 v11, -1, v7
	v_fma_f32 v12, -v11, v7, v6
	v_cmp_ge_f32_e64 s[0:1], 0, v12
	v_add_u32_e32 v12, 1, v7
	v_cndmask_b32_e64 v11, v7, v11, s[0:1]
	v_fma_f32 v7, -v12, v7, v6
	v_cmp_lt_f32_e64 s[0:1], 0, v7
	v_cndmask_b32_e64 v7, v11, v12, s[0:1]
	v_mul_f32_e32 v11, 0x37800000, v7
	v_cndmask_b32_e32 v7, v7, v11, vcc
	v_cmp_class_f32_e32 vcc, v6, v1
	v_cndmask_b32_e32 v6, v7, v6, vcc
	v_mul_f32_e32 v11, v9, v6
.LBB15_22:                              ;   in Loop: Header=BB15_10 Depth=1
	s_or_b64 exec, exec, s[10:11]
                                        ; implicit-def: $vgpr6
                                        ; implicit-def: $vgpr9
	s_andn2_saveexec_b64 s[8:9], s[8:9]
	s_cbranch_execz .LBB15_19
.LBB15_23:                              ;   in Loop: Header=BB15_10 Depth=1
	v_div_scale_f32 v7, s[0:1], v6, v6, v9
	v_rcp_f32_e32 v11, v7
	v_div_scale_f32 v12, vcc, v9, v6, v9
	v_fma_f32 v13, -v7, v11, 1.0
	v_fmac_f32_e32 v11, v13, v11
	v_mul_f32_e32 v13, v12, v11
	v_fma_f32 v14, -v7, v13, v12
	v_fmac_f32_e32 v13, v14, v11
	v_fma_f32 v7, -v7, v13, v12
	v_div_fmas_f32 v7, v7, v11, v13
	v_div_fixup_f32 v7, v7, v6, v9
	v_fma_f32 v7, v7, v7, 1.0
	v_mul_f32_e32 v9, 0x4f800000, v7
	v_cmp_gt_f32_e32 vcc, s12, v7
	v_cndmask_b32_e32 v7, v7, v9, vcc
	v_sqrt_f32_e32 v9, v7
	v_add_u32_e32 v11, -1, v9
	v_fma_f32 v12, -v11, v9, v7
	v_cmp_ge_f32_e64 s[0:1], 0, v12
	v_add_u32_e32 v12, 1, v9
	v_cndmask_b32_e64 v11, v9, v11, s[0:1]
	v_fma_f32 v9, -v12, v9, v7
	v_cmp_lt_f32_e64 s[0:1], 0, v9
	v_cndmask_b32_e64 v9, v11, v12, s[0:1]
	v_mul_f32_e32 v11, 0x37800000, v9
	v_cndmask_b32_e32 v9, v9, v11, vcc
	v_cmp_class_f32_e32 vcc, v7, v1
	v_cndmask_b32_e32 v7, v9, v7, vcc
	v_mul_f32_e32 v11, v6, v7
	s_or_b64 exec, exec, s[8:9]
	v_cmp_lt_f32_e32 vcc, s13, v11
	s_and_saveexec_b64 s[0:1], vcc
	s_cbranch_execz .LBB15_8
.LBB15_24:                              ;   in Loop: Header=BB15_10 Depth=1
	v_add_u32_e32 v8, 1, v8
	s_branch .LBB15_8
.LBB15_25:
	s_or_b64 exec, exec, s[6:7]
.LBB15_26:
	s_or_b64 exec, exec, s[4:5]
.LBB15_27:
	s_or_b64 exec, exec, s[28:29]
	v_mov_b32_dpp v0, v8 row_shr:1 row_mask:0xf bank_mask:0xf
	v_add_u32_e32 v0, v0, v8
	s_nop 1
	v_mov_b32_dpp v1, v0 row_shr:2 row_mask:0xf bank_mask:0xf
	v_add_u32_e32 v0, v0, v1
	s_nop 1
	;; [unrolled: 3-line block ×3, first 2 shown]
	v_mov_b32_dpp v1, v0 row_shr:8 row_mask:0xf bank_mask:0xc
	v_add_u32_e32 v0, v0, v1
	v_mbcnt_lo_u32_b32 v1, -1, 0
	v_mbcnt_hi_u32_b32 v1, -1, v1
	v_lshl_or_b32 v1, v1, 2, 60
	ds_bpermute_b32 v4, v1, v0
	v_mov_b32_e32 v1, s31
	v_add_co_u32_e32 v0, vcc, s30, v2
	v_addc_co_u32_e32 v1, vcc, v1, v3, vcc
	s_waitcnt lgkmcnt(0)
	global_store_dword v[0:1], v4, off
.LBB15_28:
	s_endpgm
	.section	.rodata,"a",@progbits
	.p2align	6, 0x0
	.amdhsa_kernel _ZN9rocsparseL19nnz_compress_kernelILi1024ELi64ELi16E21rocsparse_complex_numIfEEEvi21rocsparse_index_base_PKT2_PKiPiS4_
		.amdhsa_group_segment_fixed_size 0
		.amdhsa_private_segment_fixed_size 0
		.amdhsa_kernarg_size 40
		.amdhsa_user_sgpr_count 6
		.amdhsa_user_sgpr_private_segment_buffer 1
		.amdhsa_user_sgpr_dispatch_ptr 0
		.amdhsa_user_sgpr_queue_ptr 0
		.amdhsa_user_sgpr_kernarg_segment_ptr 1
		.amdhsa_user_sgpr_dispatch_id 0
		.amdhsa_user_sgpr_flat_scratch_init 0
		.amdhsa_user_sgpr_kernarg_preload_length 0
		.amdhsa_user_sgpr_kernarg_preload_offset 0
		.amdhsa_user_sgpr_private_segment_size 0
		.amdhsa_uses_dynamic_stack 0
		.amdhsa_system_sgpr_private_segment_wavefront_offset 0
		.amdhsa_system_sgpr_workgroup_id_x 1
		.amdhsa_system_sgpr_workgroup_id_y 0
		.amdhsa_system_sgpr_workgroup_id_z 0
		.amdhsa_system_sgpr_workgroup_info 0
		.amdhsa_system_vgpr_workitem_id 0
		.amdhsa_next_free_vgpr 37
		.amdhsa_next_free_sgpr 43
		.amdhsa_accum_offset 40
		.amdhsa_reserve_vcc 1
		.amdhsa_reserve_flat_scratch 0
		.amdhsa_float_round_mode_32 0
		.amdhsa_float_round_mode_16_64 0
		.amdhsa_float_denorm_mode_32 3
		.amdhsa_float_denorm_mode_16_64 3
		.amdhsa_dx10_clamp 1
		.amdhsa_ieee_mode 1
		.amdhsa_fp16_overflow 0
		.amdhsa_tg_split 0
		.amdhsa_exception_fp_ieee_invalid_op 0
		.amdhsa_exception_fp_denorm_src 0
		.amdhsa_exception_fp_ieee_div_zero 0
		.amdhsa_exception_fp_ieee_overflow 0
		.amdhsa_exception_fp_ieee_underflow 0
		.amdhsa_exception_fp_ieee_inexact 0
		.amdhsa_exception_int_div_zero 0
	.end_amdhsa_kernel
	.section	.text._ZN9rocsparseL19nnz_compress_kernelILi1024ELi64ELi16E21rocsparse_complex_numIfEEEvi21rocsparse_index_base_PKT2_PKiPiS4_,"axG",@progbits,_ZN9rocsparseL19nnz_compress_kernelILi1024ELi64ELi16E21rocsparse_complex_numIfEEEvi21rocsparse_index_base_PKT2_PKiPiS4_,comdat
.Lfunc_end15:
	.size	_ZN9rocsparseL19nnz_compress_kernelILi1024ELi64ELi16E21rocsparse_complex_numIfEEEvi21rocsparse_index_base_PKT2_PKiPiS4_, .Lfunc_end15-_ZN9rocsparseL19nnz_compress_kernelILi1024ELi64ELi16E21rocsparse_complex_numIfEEEvi21rocsparse_index_base_PKT2_PKiPiS4_
                                        ; -- End function
	.section	.AMDGPU.csdata,"",@progbits
; Kernel info:
; codeLenInByte = 2620
; NumSgprs: 47
; NumVgprs: 37
; NumAgprs: 0
; TotalNumVgprs: 37
; ScratchSize: 0
; MemoryBound: 0
; FloatMode: 240
; IeeeMode: 1
; LDSByteSize: 0 bytes/workgroup (compile time only)
; SGPRBlocks: 5
; VGPRBlocks: 4
; NumSGPRsForWavesPerEU: 47
; NumVGPRsForWavesPerEU: 37
; AccumOffset: 40
; Occupancy: 8
; WaveLimiterHint : 0
; COMPUTE_PGM_RSRC2:SCRATCH_EN: 0
; COMPUTE_PGM_RSRC2:USER_SGPR: 6
; COMPUTE_PGM_RSRC2:TRAP_HANDLER: 0
; COMPUTE_PGM_RSRC2:TGID_X_EN: 1
; COMPUTE_PGM_RSRC2:TGID_Y_EN: 0
; COMPUTE_PGM_RSRC2:TGID_Z_EN: 0
; COMPUTE_PGM_RSRC2:TIDIG_COMP_CNT: 0
; COMPUTE_PGM_RSRC3_GFX90A:ACCUM_OFFSET: 9
; COMPUTE_PGM_RSRC3_GFX90A:TG_SPLIT: 0
	.section	.text._ZN9rocsparseL19nnz_compress_kernelILi1024ELi32ELi32E21rocsparse_complex_numIfEEEvi21rocsparse_index_base_PKT2_PKiPiS4_,"axG",@progbits,_ZN9rocsparseL19nnz_compress_kernelILi1024ELi32ELi32E21rocsparse_complex_numIfEEEvi21rocsparse_index_base_PKT2_PKiPiS4_,comdat
	.globl	_ZN9rocsparseL19nnz_compress_kernelILi1024ELi32ELi32E21rocsparse_complex_numIfEEEvi21rocsparse_index_base_PKT2_PKiPiS4_ ; -- Begin function _ZN9rocsparseL19nnz_compress_kernelILi1024ELi32ELi32E21rocsparse_complex_numIfEEEvi21rocsparse_index_base_PKT2_PKiPiS4_
	.p2align	8
	.type	_ZN9rocsparseL19nnz_compress_kernelILi1024ELi32ELi32E21rocsparse_complex_numIfEEEvi21rocsparse_index_base_PKT2_PKiPiS4_,@function
_ZN9rocsparseL19nnz_compress_kernelILi1024ELi32ELi32E21rocsparse_complex_numIfEEEvi21rocsparse_index_base_PKT2_PKiPiS4_: ; @_ZN9rocsparseL19nnz_compress_kernelILi1024ELi32ELi32E21rocsparse_complex_numIfEEEvi21rocsparse_index_base_PKT2_PKiPiS4_
; %bb.0:
	s_load_dwordx2 s[0:1], s[4:5], 0x0
	v_lshrrev_b32_e32 v1, 5, v0
	v_lshl_or_b32 v2, s6, 5, v1
	s_waitcnt lgkmcnt(0)
	v_cmp_gt_i32_e32 vcc, s0, v2
	s_and_saveexec_b64 s[2:3], vcc
	s_cbranch_execz .LBB16_28
; %bb.1:
	s_load_dwordx4 s[28:31], s[4:5], 0x10
	v_ashrrev_i32_e32 v3, 31, v2
	v_lshlrev_b64 v[2:3], 2, v[2:3]
	v_mov_b32_e32 v8, 0
	s_waitcnt lgkmcnt(0)
	v_mov_b32_e32 v1, s29
	v_add_co_u32_e32 v4, vcc, s28, v2
	v_addc_co_u32_e32 v5, vcc, v1, v3, vcc
	global_load_dwordx2 v[4:5], v[4:5], off
	v_and_b32_e32 v1, 31, v0
	v_subrev_u32_e32 v0, s1, v1
	s_waitcnt vmcnt(0)
	v_subrev_u32_e32 v10, s1, v5
	v_add_u32_e32 v0, v4, v0
	v_cmp_lt_i32_e32 vcc, v0, v10
	s_and_saveexec_b64 s[28:29], vcc
	s_cbranch_execz .LBB16_27
; %bb.2:
	v_add_u32_e32 v5, v4, v1
	v_subrev_u32_e32 v5, s1, v5
	s_load_dwordx2 s[34:35], s[4:5], 0x8
	s_load_dword s33, s[4:5], 0x20
	v_add_u32_e32 v5, 32, v5
	v_max_i32_e32 v5, v5, v10
	v_not_b32_e32 v4, v4
	v_add3_u32 v4, v5, s1, v4
	v_sub_u32_e32 v1, v4, v1
	v_cmp_lt_u32_e32 vcc, 31, v1
	s_mov_b64 s[0:1], -1
	v_mov_b32_e32 v8, 0
	s_and_saveexec_b64 s[36:37], vcc
	s_cbranch_execz .LBB16_6
; %bb.3:
	v_lshrrev_b32_e32 v1, 5, v1
	v_add_u32_e32 v11, 1, v1
	v_and_b32_e32 v12, 0xffffffe, v11
	v_add_u32_e32 v1, 32, v0
	s_waitcnt lgkmcnt(0)
	s_mov_b32 s40, s33
	s_mov_b64 s[38:39], 0
	v_mov_b32_e32 v13, 0
	v_mov_b32_e32 v14, s35
	s_mov_b32 s41, 0xf800000
	v_mov_b32_e32 v15, 0x260
	s_mov_b32 s42, 0x800000
	v_mov_b32_e32 v16, v12
	v_pk_mov_b32 v[4:5], v[0:1], v[0:1] op_sel:[0,1]
	v_mov_b32_e32 v1, 0
.LBB16_4:                               ; =>This Inner Loop Header: Depth=1
	v_ashrrev_i32_e32 v9, 31, v4
	v_mov_b32_e32 v8, v4
	v_lshlrev_b64 v[8:9], 3, v[8:9]
	v_ashrrev_i32_e32 v7, 31, v5
	v_mov_b32_e32 v6, v5
	v_add_co_u32_e32 v8, vcc, s34, v8
	v_lshlrev_b64 v[6:7], 3, v[6:7]
	v_addc_co_u32_e32 v9, vcc, v14, v9, vcc
	v_add_co_u32_e32 v6, vcc, s34, v6
	v_addc_co_u32_e32 v7, vcc, v14, v7, vcc
	global_load_dwordx2 v[18:19], v[6:7], off
	global_load_dwordx2 v[20:21], v[8:9], off
	v_add_u32_e32 v16, -2, v16
	v_cmp_eq_u32_e64 s[0:1], 0, v16
	v_add_u32_e32 v5, 64, v5
	v_add_u32_e32 v4, 64, v4
	s_waitcnt vmcnt(1)
	v_cmp_gt_f32_e32 vcc, 0, v18
	v_cndmask_b32_e64 v7, v18, -v18, vcc
	s_waitcnt vmcnt(0)
	v_cmp_gt_f32_e32 vcc, 0, v20
	v_cndmask_b32_e64 v6, v20, -v20, vcc
	v_cmp_gt_f32_e32 vcc, 0, v19
	v_cndmask_b32_e64 v9, v19, -v19, vcc
	;; [unrolled: 2-line block ×3, first 2 shown]
	v_div_scale_f32 v17, s[18:19], v9, v9, v7
	v_cmp_eq_f32_e64 s[10:11], 0, v19
	v_cmp_neq_f32_e64 s[2:3], 0, v19
	v_div_scale_f32 v19, s[18:19], v8, v8, v6
	v_rcp_f32_e32 v25, v17
	v_rcp_f32_e32 v26, v19
	v_cmp_eq_f32_e64 s[12:13], 0, v21
	v_cmp_neq_f32_e64 s[4:5], 0, v21
	v_div_scale_f32 v21, s[20:21], v7, v7, v9
	v_div_scale_f32 v23, s[22:23], v6, v6, v8
	v_rcp_f32_e32 v27, v21
	v_rcp_f32_e32 v28, v23
	v_fma_f32 v29, -v17, v25, 1.0
	v_div_scale_f32 v18, vcc, v7, v9, v7
	v_fma_f32 v30, -v19, v26, 1.0
	v_fmac_f32_e32 v25, v29, v25
	v_div_scale_f32 v20, s[18:19], v6, v8, v6
	v_fmac_f32_e32 v26, v30, v26
	v_mul_f32_e32 v29, v18, v25
	v_fma_f32 v31, -v21, v27, 1.0
	v_mul_f32_e32 v30, v20, v26
	v_fma_f32 v33, -v17, v29, v18
	v_div_scale_f32 v22, s[20:21], v9, v7, v9
	v_fma_f32 v32, -v23, v28, 1.0
	v_fmac_f32_e32 v27, v31, v27
	v_fma_f32 v34, -v19, v30, v20
	v_fmac_f32_e32 v29, v33, v25
	v_div_scale_f32 v24, s[22:23], v8, v6, v8
	v_fmac_f32_e32 v28, v32, v28
	v_mul_f32_e32 v31, v22, v27
	v_fmac_f32_e32 v30, v34, v26
	v_fma_f32 v17, -v17, v29, v18
	v_mul_f32_e32 v32, v24, v28
	v_fma_f32 v35, -v21, v31, v22
	v_fma_f32 v18, -v19, v30, v20
	v_div_fmas_f32 v17, v17, v25, v29
	s_mov_b64 vcc, s[18:19]
	v_fma_f32 v36, -v23, v32, v24
	v_fmac_f32_e32 v31, v35, v27
	v_div_fixup_f32 v19, v17, v9, v7
	v_div_fmas_f32 v17, v18, v26, v30
	v_fmac_f32_e32 v32, v36, v28
	v_fma_f32 v20, -v21, v31, v22
	v_div_fixup_f32 v18, v17, v8, v6
	s_mov_b64 vcc, s[20:21]
	v_fma_f32 v22, -v23, v32, v24
	v_div_fmas_f32 v17, v20, v27, v31
	v_pk_fma_f32 v[18:19], v[18:19], v[18:19], 1.0 op_sel_hi:[1,1,0]
	s_mov_b64 vcc, s[22:23]
	v_div_fixup_f32 v21, v17, v7, v9
	v_div_fmas_f32 v17, v22, v28, v32
	v_mul_f32_e32 v22, 0x4f800000, v19
	v_cmp_gt_f32_e64 s[18:19], s41, v19
	v_mul_f32_e32 v23, 0x4f800000, v18
	v_cmp_gt_f32_e32 vcc, s41, v18
	v_div_fixup_f32 v20, v17, v6, v8
	v_cndmask_b32_e64 v17, v19, v22, s[18:19]
	v_cndmask_b32_e32 v22, v18, v23, vcc
	v_pk_fma_f32 v[18:19], v[20:21], v[20:21], 1.0 op_sel_hi:[1,1,0]
	v_sqrt_f32_e32 v20, v17
	v_sqrt_f32_e32 v21, v22
	v_mul_f32_e32 v23, 0x4f800000, v19
	v_cmp_gt_f32_e64 s[22:23], s41, v19
	v_mul_f32_e32 v24, 0x4f800000, v18
	v_cmp_gt_f32_e64 s[20:21], s41, v18
	v_cndmask_b32_e64 v23, v19, v23, s[22:23]
	v_cndmask_b32_e64 v24, v18, v24, s[20:21]
	v_sqrt_f32_e32 v18, v23
	v_sqrt_f32_e32 v19, v24
	v_add_u32_e32 v25, -1, v20
	v_add_u32_e32 v26, 1, v20
	v_add_u32_e32 v27, -1, v21
	v_fma_f32 v29, -v25, v20, v17
	v_add_u32_e32 v28, 1, v21
	v_fma_f32 v30, -v26, v20, v17
	v_fma_f32 v31, -v27, v21, v22
	v_cmp_ge_f32_e64 s[24:25], 0, v29
	v_fma_f32 v32, -v28, v21, v22
	v_cndmask_b32_e64 v20, v20, v25, s[24:25]
	v_cmp_ge_f32_e64 s[24:25], 0, v31
	v_add_u32_e32 v25, -1, v18
	v_cmp_lt_f32_e64 s[26:27], 0, v30
	v_cndmask_b32_e64 v21, v21, v27, s[24:25]
	v_cmp_lt_f32_e64 s[24:25], 0, v32
	v_add_u32_e32 v29, -1, v19
	v_cndmask_b32_e64 v20, v20, v26, s[26:27]
	v_fma_f32 v26, -v25, v18, v23
	v_add_u32_e32 v27, 1, v18
	v_add_u32_e32 v31, 1, v19
	v_cndmask_b32_e64 v21, v21, v28, s[24:25]
	v_fma_f32 v30, -v29, v19, v24
	v_cmp_ge_f32_e64 s[24:25], 0, v26
	v_fma_f32 v28, -v27, v18, v23
	v_fma_f32 v32, -v31, v19, v24
	v_cndmask_b32_e64 v18, v18, v25, s[24:25]
	v_cmp_ge_f32_e64 s[24:25], 0, v30
	v_mul_f32_e32 v33, 0x37800000, v20
	v_mul_f32_e32 v34, 0x37800000, v21
	v_cndmask_b32_e64 v19, v19, v29, s[24:25]
	v_cmp_lt_f32_e64 s[24:25], 0, v32
	v_cmp_lt_f32_e64 s[26:27], 0, v28
	v_cndmask_b32_e64 v20, v20, v33, s[18:19]
	v_cndmask_b32_e32 v21, v21, v34, vcc
	v_cmp_class_f32_e32 vcc, v22, v15
	v_cndmask_b32_e64 v25, v18, v27, s[26:27]
	v_cndmask_b32_e64 v26, v19, v31, s[24:25]
	v_cmp_class_f32_e64 s[18:19], v17, v15
	v_cndmask_b32_e64 v19, v20, v17, s[18:19]
	v_cndmask_b32_e32 v18, v21, v22, vcc
	v_mul_f32_e32 v17, 0x37800000, v25
	v_mul_f32_e32 v20, 0x37800000, v26
	v_cmp_gt_f32_e64 s[14:15], v6, v8
	v_cmp_gt_f32_e64 s[16:17], v7, v9
	v_cmp_ngt_f32_e64 s[6:7], v7, v9
	v_cmp_ngt_f32_e64 s[8:9], v6, v8
	v_pk_mul_f32 v[8:9], v[8:9], v[18:19]
	v_cndmask_b32_e64 v17, v25, v17, s[22:23]
	v_cndmask_b32_e64 v18, v26, v20, s[20:21]
	v_cmp_class_f32_e32 vcc, v24, v15
	v_cmp_class_f32_e64 s[18:19], v23, v15
	v_cndmask_b32_e64 v19, v17, v23, s[18:19]
	v_cndmask_b32_e32 v18, v18, v24, vcc
	v_pk_mul_f32 v[6:7], v[6:7], v[18:19]
	s_or_b64 vcc, s[16:17], s[10:11]
	s_or_b64 s[14:15], s[14:15], s[12:13]
	v_cndmask_b32_e32 v18, v9, v7, vcc
	s_and_b64 s[10:11], s[6:7], s[10:11]
	v_cndmask_b32_e64 v17, v8, v6, s[14:15]
	s_and_b64 s[12:13], s[8:9], s[12:13]
	v_cndmask_b32_e64 v18, v18, 0, s[10:11]
	v_cndmask_b32_e64 v17, v17, 0, s[12:13]
	v_cmp_lt_f32_e64 s[10:11], s40, v18
	v_cmp_lt_f32_e32 vcc, s33, v17
	s_and_b64 s[12:13], s[10:11], s[6:7]
	s_and_b64 s[8:9], vcc, s[8:9]
	s_and_b64 s[6:7], s[12:13], s[2:3]
	v_cndmask_b32_e64 v7, v7, v9, s[6:7]
	s_and_b64 s[6:7], s[8:9], s[4:5]
	s_xor_b64 s[14:15], s[8:9], -1
	s_xor_b64 s[12:13], s[12:13], -1
	v_cndmask_b32_e64 v6, v6, v8, s[6:7]
	s_or_b64 s[2:3], s[12:13], s[2:3]
	s_or_b64 s[4:5], s[14:15], s[4:5]
	v_cmp_lt_f32_e64 s[6:7], s42, v6
	v_cmp_lt_f32_e64 s[8:9], s42, v7
	s_and_b64 s[4:5], vcc, s[4:5]
	s_and_b64 s[2:3], s[10:11], s[2:3]
	s_and_b64 s[4:5], s[4:5], s[6:7]
	;; [unrolled: 1-line block ×3, first 2 shown]
	v_cndmask_b32_e64 v6, 0, 1, s[4:5]
	v_cndmask_b32_e64 v7, 0, 1, s[2:3]
	v_add_u32_e32 v1, v1, v7
	s_or_b64 s[38:39], s[0:1], s[38:39]
	v_add_u32_e32 v13, v13, v6
	s_andn2_b64 exec, exec, s[38:39]
	s_cbranch_execnz .LBB16_4
; %bb.5:
	s_or_b64 exec, exec, s[38:39]
	v_cmp_ne_u32_e32 vcc, v11, v12
	v_lshl_add_u32 v0, v12, 5, v0
	v_add_u32_e32 v8, v13, v1
	s_orn2_b64 s[0:1], vcc, exec
.LBB16_6:
	s_or_b64 exec, exec, s[36:37]
	s_and_saveexec_b64 s[4:5], s[0:1]
	s_cbranch_execz .LBB16_26
; %bb.7:
	v_ashrrev_i32_e32 v1, 31, v0
	v_lshlrev_b64 v[4:5], 3, v[0:1]
	s_waitcnt lgkmcnt(0)
	v_mov_b32_e32 v1, s35
	v_add_co_u32_e32 v4, vcc, s34, v4
	v_addc_co_u32_e32 v5, vcc, v1, v5, vcc
	s_mov_b64 s[6:7], 0
	s_mov_b32 s12, 0xf800000
	v_mov_b32_e32 v1, 0x260
	s_mov_b32 s13, 0x800000
	s_branch .LBB16_10
.LBB16_8:                               ;   in Loop: Header=BB16_10 Depth=1
	s_or_b64 exec, exec, s[0:1]
.LBB16_9:                               ;   in Loop: Header=BB16_10 Depth=1
	s_or_b64 exec, exec, s[2:3]
	v_add_u32_e32 v0, 32, v0
	v_add_co_u32_e32 v4, vcc, 0x100, v4
	v_cmp_ge_i32_e64 s[0:1], v0, v10
	s_or_b64 s[6:7], s[0:1], s[6:7]
	v_addc_co_u32_e32 v5, vcc, 0, v5, vcc
	s_andn2_b64 exec, exec, s[6:7]
	s_cbranch_execz .LBB16_25
.LBB16_10:                              ; =>This Inner Loop Header: Depth=1
	global_load_dwordx2 v[6:7], v[4:5], off
                                        ; implicit-def: $vgpr11
	s_waitcnt vmcnt(0)
	v_cmp_gt_f32_e32 vcc, 0, v6
	v_cndmask_b32_e64 v6, v6, -v6, vcc
	v_cmp_gt_f32_e32 vcc, 0, v7
	v_cndmask_b32_e64 v9, v7, -v7, vcc
	v_cmp_ngt_f32_e64 s[0:1], v6, v9
	s_and_saveexec_b64 s[2:3], s[0:1]
	s_xor_b64 s[8:9], exec, s[2:3]
	s_cbranch_execnz .LBB16_13
; %bb.11:                               ;   in Loop: Header=BB16_10 Depth=1
	s_andn2_saveexec_b64 s[8:9], s[8:9]
	s_cbranch_execnz .LBB16_16
.LBB16_12:                              ;   in Loop: Header=BB16_10 Depth=1
	s_or_b64 exec, exec, s[8:9]
	v_cmp_lt_f32_e32 vcc, s33, v11
	s_and_saveexec_b64 s[2:3], vcc
	s_cbranch_execz .LBB16_9
	s_branch .LBB16_17
.LBB16_13:                              ;   in Loop: Header=BB16_10 Depth=1
	v_cmp_neq_f32_e32 vcc, 0, v7
	v_mov_b32_e32 v11, 0
	s_and_saveexec_b64 s[10:11], vcc
	s_cbranch_execz .LBB16_15
; %bb.14:                               ;   in Loop: Header=BB16_10 Depth=1
	v_div_scale_f32 v11, s[2:3], v9, v9, v6
	v_rcp_f32_e32 v12, v11
	v_div_scale_f32 v13, vcc, v6, v9, v6
	v_fma_f32 v14, -v11, v12, 1.0
	v_fmac_f32_e32 v12, v14, v12
	v_mul_f32_e32 v14, v13, v12
	v_fma_f32 v15, -v11, v14, v13
	v_fmac_f32_e32 v14, v15, v12
	v_fma_f32 v11, -v11, v14, v13
	v_div_fmas_f32 v11, v11, v12, v14
	v_div_fixup_f32 v11, v11, v9, v6
	v_fma_f32 v11, v11, v11, 1.0
	v_mul_f32_e32 v12, 0x4f800000, v11
	v_cmp_gt_f32_e32 vcc, s12, v11
	v_cndmask_b32_e32 v11, v11, v12, vcc
	v_sqrt_f32_e32 v12, v11
	v_add_u32_e32 v13, -1, v12
	v_fma_f32 v14, -v13, v12, v11
	v_cmp_ge_f32_e64 s[2:3], 0, v14
	v_add_u32_e32 v14, 1, v12
	v_cndmask_b32_e64 v13, v12, v13, s[2:3]
	v_fma_f32 v12, -v14, v12, v11
	v_cmp_lt_f32_e64 s[2:3], 0, v12
	v_cndmask_b32_e64 v12, v13, v14, s[2:3]
	v_mul_f32_e32 v13, 0x37800000, v12
	v_cndmask_b32_e32 v12, v12, v13, vcc
	v_cmp_class_f32_e32 vcc, v11, v1
	v_cndmask_b32_e32 v11, v12, v11, vcc
	v_mul_f32_e32 v11, v9, v11
.LBB16_15:                              ;   in Loop: Header=BB16_10 Depth=1
	s_or_b64 exec, exec, s[10:11]
	s_andn2_saveexec_b64 s[8:9], s[8:9]
	s_cbranch_execz .LBB16_12
.LBB16_16:                              ;   in Loop: Header=BB16_10 Depth=1
	v_div_scale_f32 v11, s[2:3], v6, v6, v9
	v_rcp_f32_e32 v12, v11
	v_div_scale_f32 v13, vcc, v9, v6, v9
	v_fma_f32 v14, -v11, v12, 1.0
	v_fmac_f32_e32 v12, v14, v12
	v_mul_f32_e32 v14, v13, v12
	v_fma_f32 v15, -v11, v14, v13
	v_fmac_f32_e32 v14, v15, v12
	v_fma_f32 v11, -v11, v14, v13
	v_div_fmas_f32 v11, v11, v12, v14
	v_div_fixup_f32 v11, v11, v6, v9
	v_fma_f32 v11, v11, v11, 1.0
	v_mul_f32_e32 v12, 0x4f800000, v11
	v_cmp_gt_f32_e32 vcc, s12, v11
	v_cndmask_b32_e32 v11, v11, v12, vcc
	v_sqrt_f32_e32 v12, v11
	v_add_u32_e32 v13, -1, v12
	v_fma_f32 v14, -v13, v12, v11
	v_cmp_ge_f32_e64 s[2:3], 0, v14
	v_add_u32_e32 v14, 1, v12
	v_cndmask_b32_e64 v13, v12, v13, s[2:3]
	v_fma_f32 v12, -v14, v12, v11
	v_cmp_lt_f32_e64 s[2:3], 0, v12
	v_cndmask_b32_e64 v12, v13, v14, s[2:3]
	v_mul_f32_e32 v13, 0x37800000, v12
	v_cndmask_b32_e32 v12, v12, v13, vcc
	v_cmp_class_f32_e32 vcc, v11, v1
	v_cndmask_b32_e32 v11, v12, v11, vcc
	v_mul_f32_e32 v11, v6, v11
	s_or_b64 exec, exec, s[8:9]
	v_cmp_lt_f32_e32 vcc, s33, v11
	s_and_saveexec_b64 s[2:3], vcc
	s_cbranch_execz .LBB16_9
.LBB16_17:                              ;   in Loop: Header=BB16_10 Depth=1
                                        ; implicit-def: $vgpr11
	s_and_saveexec_b64 s[8:9], s[0:1]
	s_xor_b64 s[8:9], exec, s[8:9]
	s_cbranch_execnz .LBB16_20
; %bb.18:                               ;   in Loop: Header=BB16_10 Depth=1
	s_andn2_saveexec_b64 s[8:9], s[8:9]
	s_cbranch_execnz .LBB16_23
.LBB16_19:                              ;   in Loop: Header=BB16_10 Depth=1
	s_or_b64 exec, exec, s[8:9]
	v_cmp_lt_f32_e32 vcc, s13, v11
	s_and_saveexec_b64 s[0:1], vcc
	s_cbranch_execz .LBB16_8
	s_branch .LBB16_24
.LBB16_20:                              ;   in Loop: Header=BB16_10 Depth=1
	v_cmp_neq_f32_e32 vcc, 0, v7
	v_mov_b32_e32 v11, 0
	s_and_saveexec_b64 s[10:11], vcc
	s_cbranch_execz .LBB16_22
; %bb.21:                               ;   in Loop: Header=BB16_10 Depth=1
	v_div_scale_f32 v7, s[0:1], v9, v9, v6
	v_rcp_f32_e32 v11, v7
	v_div_scale_f32 v12, vcc, v6, v9, v6
	v_fma_f32 v13, -v7, v11, 1.0
	v_fmac_f32_e32 v11, v13, v11
	v_mul_f32_e32 v13, v12, v11
	v_fma_f32 v14, -v7, v13, v12
	v_fmac_f32_e32 v13, v14, v11
	v_fma_f32 v7, -v7, v13, v12
	v_div_fmas_f32 v7, v7, v11, v13
	v_div_fixup_f32 v6, v7, v9, v6
	v_fma_f32 v6, v6, v6, 1.0
	v_mul_f32_e32 v7, 0x4f800000, v6
	v_cmp_gt_f32_e32 vcc, s12, v6
	v_cndmask_b32_e32 v6, v6, v7, vcc
	v_sqrt_f32_e32 v7, v6
	v_add_u32_e32 v11, -1, v7
	v_fma_f32 v12, -v11, v7, v6
	v_cmp_ge_f32_e64 s[0:1], 0, v12
	v_add_u32_e32 v12, 1, v7
	v_cndmask_b32_e64 v11, v7, v11, s[0:1]
	v_fma_f32 v7, -v12, v7, v6
	v_cmp_lt_f32_e64 s[0:1], 0, v7
	v_cndmask_b32_e64 v7, v11, v12, s[0:1]
	v_mul_f32_e32 v11, 0x37800000, v7
	v_cndmask_b32_e32 v7, v7, v11, vcc
	v_cmp_class_f32_e32 vcc, v6, v1
	v_cndmask_b32_e32 v6, v7, v6, vcc
	v_mul_f32_e32 v11, v9, v6
.LBB16_22:                              ;   in Loop: Header=BB16_10 Depth=1
	s_or_b64 exec, exec, s[10:11]
                                        ; implicit-def: $vgpr6
                                        ; implicit-def: $vgpr9
	s_andn2_saveexec_b64 s[8:9], s[8:9]
	s_cbranch_execz .LBB16_19
.LBB16_23:                              ;   in Loop: Header=BB16_10 Depth=1
	v_div_scale_f32 v7, s[0:1], v6, v6, v9
	v_rcp_f32_e32 v11, v7
	v_div_scale_f32 v12, vcc, v9, v6, v9
	v_fma_f32 v13, -v7, v11, 1.0
	v_fmac_f32_e32 v11, v13, v11
	v_mul_f32_e32 v13, v12, v11
	v_fma_f32 v14, -v7, v13, v12
	v_fmac_f32_e32 v13, v14, v11
	v_fma_f32 v7, -v7, v13, v12
	v_div_fmas_f32 v7, v7, v11, v13
	v_div_fixup_f32 v7, v7, v6, v9
	v_fma_f32 v7, v7, v7, 1.0
	v_mul_f32_e32 v9, 0x4f800000, v7
	v_cmp_gt_f32_e32 vcc, s12, v7
	v_cndmask_b32_e32 v7, v7, v9, vcc
	v_sqrt_f32_e32 v9, v7
	v_add_u32_e32 v11, -1, v9
	v_fma_f32 v12, -v11, v9, v7
	v_cmp_ge_f32_e64 s[0:1], 0, v12
	v_add_u32_e32 v12, 1, v9
	v_cndmask_b32_e64 v11, v9, v11, s[0:1]
	v_fma_f32 v9, -v12, v9, v7
	v_cmp_lt_f32_e64 s[0:1], 0, v9
	v_cndmask_b32_e64 v9, v11, v12, s[0:1]
	v_mul_f32_e32 v11, 0x37800000, v9
	v_cndmask_b32_e32 v9, v9, v11, vcc
	v_cmp_class_f32_e32 vcc, v7, v1
	v_cndmask_b32_e32 v7, v9, v7, vcc
	v_mul_f32_e32 v11, v6, v7
	s_or_b64 exec, exec, s[8:9]
	v_cmp_lt_f32_e32 vcc, s13, v11
	s_and_saveexec_b64 s[0:1], vcc
	s_cbranch_execz .LBB16_8
.LBB16_24:                              ;   in Loop: Header=BB16_10 Depth=1
	v_add_u32_e32 v8, 1, v8
	s_branch .LBB16_8
.LBB16_25:
	s_or_b64 exec, exec, s[6:7]
.LBB16_26:
	s_or_b64 exec, exec, s[4:5]
.LBB16_27:
	s_or_b64 exec, exec, s[28:29]
	v_mov_b32_dpp v0, v8 row_shr:1 row_mask:0xf bank_mask:0xf
	v_add_u32_e32 v0, v0, v8
	v_mov_b32_e32 v4, 0x7c
	s_nop 0
	v_mov_b32_dpp v1, v0 row_shr:2 row_mask:0xf bank_mask:0xf
	v_add_u32_e32 v0, v0, v1
	s_nop 1
	v_mov_b32_dpp v1, v0 row_shr:4 row_mask:0xf bank_mask:0xe
	v_add_u32_e32 v0, v0, v1
	;; [unrolled: 3-line block ×3, first 2 shown]
	s_nop 1
	v_mov_b32_dpp v1, v0 row_bcast:15 row_mask:0xa bank_mask:0xf
	v_add_u32_e32 v0, v0, v1
	v_mbcnt_lo_u32_b32 v1, -1, 0
	v_mbcnt_hi_u32_b32 v1, -1, v1
	v_lshl_or_b32 v1, v1, 2, v4
	ds_bpermute_b32 v4, v1, v0
	v_mov_b32_e32 v1, s31
	v_add_co_u32_e32 v0, vcc, s30, v2
	v_addc_co_u32_e32 v1, vcc, v1, v3, vcc
	s_waitcnt lgkmcnt(0)
	global_store_dword v[0:1], v4, off
.LBB16_28:
	s_endpgm
	.section	.rodata,"a",@progbits
	.p2align	6, 0x0
	.amdhsa_kernel _ZN9rocsparseL19nnz_compress_kernelILi1024ELi32ELi32E21rocsparse_complex_numIfEEEvi21rocsparse_index_base_PKT2_PKiPiS4_
		.amdhsa_group_segment_fixed_size 0
		.amdhsa_private_segment_fixed_size 0
		.amdhsa_kernarg_size 40
		.amdhsa_user_sgpr_count 6
		.amdhsa_user_sgpr_private_segment_buffer 1
		.amdhsa_user_sgpr_dispatch_ptr 0
		.amdhsa_user_sgpr_queue_ptr 0
		.amdhsa_user_sgpr_kernarg_segment_ptr 1
		.amdhsa_user_sgpr_dispatch_id 0
		.amdhsa_user_sgpr_flat_scratch_init 0
		.amdhsa_user_sgpr_kernarg_preload_length 0
		.amdhsa_user_sgpr_kernarg_preload_offset 0
		.amdhsa_user_sgpr_private_segment_size 0
		.amdhsa_uses_dynamic_stack 0
		.amdhsa_system_sgpr_private_segment_wavefront_offset 0
		.amdhsa_system_sgpr_workgroup_id_x 1
		.amdhsa_system_sgpr_workgroup_id_y 0
		.amdhsa_system_sgpr_workgroup_id_z 0
		.amdhsa_system_sgpr_workgroup_info 0
		.amdhsa_system_vgpr_workitem_id 0
		.amdhsa_next_free_vgpr 37
		.amdhsa_next_free_sgpr 43
		.amdhsa_accum_offset 40
		.amdhsa_reserve_vcc 1
		.amdhsa_reserve_flat_scratch 0
		.amdhsa_float_round_mode_32 0
		.amdhsa_float_round_mode_16_64 0
		.amdhsa_float_denorm_mode_32 3
		.amdhsa_float_denorm_mode_16_64 3
		.amdhsa_dx10_clamp 1
		.amdhsa_ieee_mode 1
		.amdhsa_fp16_overflow 0
		.amdhsa_tg_split 0
		.amdhsa_exception_fp_ieee_invalid_op 0
		.amdhsa_exception_fp_denorm_src 0
		.amdhsa_exception_fp_ieee_div_zero 0
		.amdhsa_exception_fp_ieee_overflow 0
		.amdhsa_exception_fp_ieee_underflow 0
		.amdhsa_exception_fp_ieee_inexact 0
		.amdhsa_exception_int_div_zero 0
	.end_amdhsa_kernel
	.section	.text._ZN9rocsparseL19nnz_compress_kernelILi1024ELi32ELi32E21rocsparse_complex_numIfEEEvi21rocsparse_index_base_PKT2_PKiPiS4_,"axG",@progbits,_ZN9rocsparseL19nnz_compress_kernelILi1024ELi32ELi32E21rocsparse_complex_numIfEEEvi21rocsparse_index_base_PKT2_PKiPiS4_,comdat
.Lfunc_end16:
	.size	_ZN9rocsparseL19nnz_compress_kernelILi1024ELi32ELi32E21rocsparse_complex_numIfEEEvi21rocsparse_index_base_PKT2_PKiPiS4_, .Lfunc_end16-_ZN9rocsparseL19nnz_compress_kernelILi1024ELi32ELi32E21rocsparse_complex_numIfEEEvi21rocsparse_index_base_PKT2_PKiPiS4_
                                        ; -- End function
	.section	.AMDGPU.csdata,"",@progbits
; Kernel info:
; codeLenInByte = 2644
; NumSgprs: 47
; NumVgprs: 37
; NumAgprs: 0
; TotalNumVgprs: 37
; ScratchSize: 0
; MemoryBound: 0
; FloatMode: 240
; IeeeMode: 1
; LDSByteSize: 0 bytes/workgroup (compile time only)
; SGPRBlocks: 5
; VGPRBlocks: 4
; NumSGPRsForWavesPerEU: 47
; NumVGPRsForWavesPerEU: 37
; AccumOffset: 40
; Occupancy: 8
; WaveLimiterHint : 0
; COMPUTE_PGM_RSRC2:SCRATCH_EN: 0
; COMPUTE_PGM_RSRC2:USER_SGPR: 6
; COMPUTE_PGM_RSRC2:TRAP_HANDLER: 0
; COMPUTE_PGM_RSRC2:TGID_X_EN: 1
; COMPUTE_PGM_RSRC2:TGID_Y_EN: 0
; COMPUTE_PGM_RSRC2:TGID_Z_EN: 0
; COMPUTE_PGM_RSRC2:TIDIG_COMP_CNT: 0
; COMPUTE_PGM_RSRC3_GFX90A:ACCUM_OFFSET: 9
; COMPUTE_PGM_RSRC3_GFX90A:TG_SPLIT: 0
	.section	.text._ZN9rocsparseL19nnz_compress_kernelILi1024ELi16ELi64E21rocsparse_complex_numIfEEEvi21rocsparse_index_base_PKT2_PKiPiS4_,"axG",@progbits,_ZN9rocsparseL19nnz_compress_kernelILi1024ELi16ELi64E21rocsparse_complex_numIfEEEvi21rocsparse_index_base_PKT2_PKiPiS4_,comdat
	.globl	_ZN9rocsparseL19nnz_compress_kernelILi1024ELi16ELi64E21rocsparse_complex_numIfEEEvi21rocsparse_index_base_PKT2_PKiPiS4_ ; -- Begin function _ZN9rocsparseL19nnz_compress_kernelILi1024ELi16ELi64E21rocsparse_complex_numIfEEEvi21rocsparse_index_base_PKT2_PKiPiS4_
	.p2align	8
	.type	_ZN9rocsparseL19nnz_compress_kernelILi1024ELi16ELi64E21rocsparse_complex_numIfEEEvi21rocsparse_index_base_PKT2_PKiPiS4_,@function
_ZN9rocsparseL19nnz_compress_kernelILi1024ELi16ELi64E21rocsparse_complex_numIfEEEvi21rocsparse_index_base_PKT2_PKiPiS4_: ; @_ZN9rocsparseL19nnz_compress_kernelILi1024ELi16ELi64E21rocsparse_complex_numIfEEEvi21rocsparse_index_base_PKT2_PKiPiS4_
; %bb.0:
	s_load_dwordx2 s[0:1], s[4:5], 0x0
	v_lshrrev_b32_e32 v1, 6, v0
	v_lshl_or_b32 v2, s6, 4, v1
	s_waitcnt lgkmcnt(0)
	v_cmp_gt_i32_e32 vcc, s0, v2
	s_and_saveexec_b64 s[2:3], vcc
	s_cbranch_execz .LBB17_28
; %bb.1:
	s_load_dwordx4 s[28:31], s[4:5], 0x10
	v_ashrrev_i32_e32 v3, 31, v2
	v_lshlrev_b64 v[2:3], 2, v[2:3]
	v_mov_b32_e32 v8, 0
	s_waitcnt lgkmcnt(0)
	v_mov_b32_e32 v1, s29
	v_add_co_u32_e32 v4, vcc, s28, v2
	v_addc_co_u32_e32 v5, vcc, v1, v3, vcc
	global_load_dwordx2 v[4:5], v[4:5], off
	v_and_b32_e32 v1, 63, v0
	v_subrev_u32_e32 v0, s1, v1
	s_waitcnt vmcnt(0)
	v_subrev_u32_e32 v10, s1, v5
	v_add_u32_e32 v0, v4, v0
	v_cmp_lt_i32_e32 vcc, v0, v10
	s_and_saveexec_b64 s[28:29], vcc
	s_cbranch_execz .LBB17_27
; %bb.2:
	v_add_u32_e32 v5, v4, v1
	v_subrev_u32_e32 v5, s1, v5
	s_load_dwordx2 s[34:35], s[4:5], 0x8
	s_load_dword s33, s[4:5], 0x20
	v_add_u32_e32 v5, 64, v5
	v_max_i32_e32 v5, v5, v10
	v_not_b32_e32 v4, v4
	v_add3_u32 v4, v5, s1, v4
	v_sub_u32_e32 v1, v4, v1
	v_cmp_lt_u32_e32 vcc, 63, v1
	s_mov_b64 s[0:1], -1
	v_mov_b32_e32 v8, 0
	s_and_saveexec_b64 s[36:37], vcc
	s_cbranch_execz .LBB17_6
; %bb.3:
	v_lshrrev_b32_e32 v1, 6, v1
	v_add_u32_e32 v11, 1, v1
	v_and_b32_e32 v12, 0x7fffffe, v11
	v_add_u32_e32 v1, 64, v0
	s_waitcnt lgkmcnt(0)
	s_mov_b32 s40, s33
	s_mov_b64 s[38:39], 0
	v_mov_b32_e32 v13, 0
	v_mov_b32_e32 v14, s35
	s_mov_b32 s41, 0xf800000
	v_mov_b32_e32 v15, 0x260
	s_mov_b32 s42, 0x800000
	v_mov_b32_e32 v16, v12
	v_pk_mov_b32 v[4:5], v[0:1], v[0:1] op_sel:[0,1]
	v_mov_b32_e32 v1, 0
.LBB17_4:                               ; =>This Inner Loop Header: Depth=1
	v_ashrrev_i32_e32 v9, 31, v4
	v_mov_b32_e32 v8, v4
	v_lshlrev_b64 v[8:9], 3, v[8:9]
	v_ashrrev_i32_e32 v7, 31, v5
	v_mov_b32_e32 v6, v5
	v_add_co_u32_e32 v8, vcc, s34, v8
	v_lshlrev_b64 v[6:7], 3, v[6:7]
	v_addc_co_u32_e32 v9, vcc, v14, v9, vcc
	v_add_co_u32_e32 v6, vcc, s34, v6
	v_addc_co_u32_e32 v7, vcc, v14, v7, vcc
	global_load_dwordx2 v[18:19], v[6:7], off
	global_load_dwordx2 v[20:21], v[8:9], off
	v_add_u32_e32 v16, -2, v16
	v_cmp_eq_u32_e64 s[0:1], 0, v16
	v_add_u32_e32 v5, 0x80, v5
	v_add_u32_e32 v4, 0x80, v4
	s_waitcnt vmcnt(1)
	v_cmp_gt_f32_e32 vcc, 0, v18
	v_cndmask_b32_e64 v7, v18, -v18, vcc
	s_waitcnt vmcnt(0)
	v_cmp_gt_f32_e32 vcc, 0, v20
	v_cndmask_b32_e64 v6, v20, -v20, vcc
	v_cmp_gt_f32_e32 vcc, 0, v19
	v_cndmask_b32_e64 v9, v19, -v19, vcc
	;; [unrolled: 2-line block ×3, first 2 shown]
	v_div_scale_f32 v17, s[18:19], v9, v9, v7
	v_cmp_eq_f32_e64 s[10:11], 0, v19
	v_cmp_neq_f32_e64 s[2:3], 0, v19
	v_div_scale_f32 v19, s[18:19], v8, v8, v6
	v_rcp_f32_e32 v25, v17
	v_rcp_f32_e32 v26, v19
	v_cmp_eq_f32_e64 s[12:13], 0, v21
	v_cmp_neq_f32_e64 s[4:5], 0, v21
	v_div_scale_f32 v21, s[20:21], v7, v7, v9
	v_div_scale_f32 v23, s[22:23], v6, v6, v8
	v_rcp_f32_e32 v27, v21
	v_rcp_f32_e32 v28, v23
	v_fma_f32 v29, -v17, v25, 1.0
	v_div_scale_f32 v18, vcc, v7, v9, v7
	v_fma_f32 v30, -v19, v26, 1.0
	v_fmac_f32_e32 v25, v29, v25
	v_div_scale_f32 v20, s[18:19], v6, v8, v6
	v_fmac_f32_e32 v26, v30, v26
	v_mul_f32_e32 v29, v18, v25
	v_fma_f32 v31, -v21, v27, 1.0
	v_mul_f32_e32 v30, v20, v26
	v_fma_f32 v33, -v17, v29, v18
	v_div_scale_f32 v22, s[20:21], v9, v7, v9
	v_fma_f32 v32, -v23, v28, 1.0
	v_fmac_f32_e32 v27, v31, v27
	v_fma_f32 v34, -v19, v30, v20
	v_fmac_f32_e32 v29, v33, v25
	v_div_scale_f32 v24, s[22:23], v8, v6, v8
	v_fmac_f32_e32 v28, v32, v28
	v_mul_f32_e32 v31, v22, v27
	v_fmac_f32_e32 v30, v34, v26
	v_fma_f32 v17, -v17, v29, v18
	v_mul_f32_e32 v32, v24, v28
	v_fma_f32 v35, -v21, v31, v22
	v_fma_f32 v18, -v19, v30, v20
	v_div_fmas_f32 v17, v17, v25, v29
	s_mov_b64 vcc, s[18:19]
	v_fma_f32 v36, -v23, v32, v24
	v_fmac_f32_e32 v31, v35, v27
	v_div_fixup_f32 v19, v17, v9, v7
	v_div_fmas_f32 v17, v18, v26, v30
	v_fmac_f32_e32 v32, v36, v28
	v_fma_f32 v20, -v21, v31, v22
	v_div_fixup_f32 v18, v17, v8, v6
	s_mov_b64 vcc, s[20:21]
	v_fma_f32 v22, -v23, v32, v24
	v_div_fmas_f32 v17, v20, v27, v31
	v_pk_fma_f32 v[18:19], v[18:19], v[18:19], 1.0 op_sel_hi:[1,1,0]
	s_mov_b64 vcc, s[22:23]
	v_div_fixup_f32 v21, v17, v7, v9
	v_div_fmas_f32 v17, v22, v28, v32
	v_mul_f32_e32 v22, 0x4f800000, v19
	v_cmp_gt_f32_e64 s[18:19], s41, v19
	v_mul_f32_e32 v23, 0x4f800000, v18
	v_cmp_gt_f32_e32 vcc, s41, v18
	v_div_fixup_f32 v20, v17, v6, v8
	v_cndmask_b32_e64 v17, v19, v22, s[18:19]
	v_cndmask_b32_e32 v22, v18, v23, vcc
	v_pk_fma_f32 v[18:19], v[20:21], v[20:21], 1.0 op_sel_hi:[1,1,0]
	v_sqrt_f32_e32 v20, v17
	v_sqrt_f32_e32 v21, v22
	v_mul_f32_e32 v23, 0x4f800000, v19
	v_cmp_gt_f32_e64 s[22:23], s41, v19
	v_mul_f32_e32 v24, 0x4f800000, v18
	v_cmp_gt_f32_e64 s[20:21], s41, v18
	v_cndmask_b32_e64 v23, v19, v23, s[22:23]
	v_cndmask_b32_e64 v24, v18, v24, s[20:21]
	v_sqrt_f32_e32 v18, v23
	v_sqrt_f32_e32 v19, v24
	v_add_u32_e32 v25, -1, v20
	v_add_u32_e32 v26, 1, v20
	v_add_u32_e32 v27, -1, v21
	v_fma_f32 v29, -v25, v20, v17
	v_add_u32_e32 v28, 1, v21
	v_fma_f32 v30, -v26, v20, v17
	v_fma_f32 v31, -v27, v21, v22
	v_cmp_ge_f32_e64 s[24:25], 0, v29
	v_fma_f32 v32, -v28, v21, v22
	v_cndmask_b32_e64 v20, v20, v25, s[24:25]
	v_cmp_ge_f32_e64 s[24:25], 0, v31
	v_add_u32_e32 v25, -1, v18
	v_cmp_lt_f32_e64 s[26:27], 0, v30
	v_cndmask_b32_e64 v21, v21, v27, s[24:25]
	v_cmp_lt_f32_e64 s[24:25], 0, v32
	v_add_u32_e32 v29, -1, v19
	v_cndmask_b32_e64 v20, v20, v26, s[26:27]
	v_fma_f32 v26, -v25, v18, v23
	v_add_u32_e32 v27, 1, v18
	v_add_u32_e32 v31, 1, v19
	v_cndmask_b32_e64 v21, v21, v28, s[24:25]
	v_fma_f32 v30, -v29, v19, v24
	v_cmp_ge_f32_e64 s[24:25], 0, v26
	v_fma_f32 v28, -v27, v18, v23
	v_fma_f32 v32, -v31, v19, v24
	v_cndmask_b32_e64 v18, v18, v25, s[24:25]
	v_cmp_ge_f32_e64 s[24:25], 0, v30
	v_mul_f32_e32 v33, 0x37800000, v20
	v_mul_f32_e32 v34, 0x37800000, v21
	v_cndmask_b32_e64 v19, v19, v29, s[24:25]
	v_cmp_lt_f32_e64 s[24:25], 0, v32
	v_cmp_lt_f32_e64 s[26:27], 0, v28
	v_cndmask_b32_e64 v20, v20, v33, s[18:19]
	v_cndmask_b32_e32 v21, v21, v34, vcc
	v_cmp_class_f32_e32 vcc, v22, v15
	v_cndmask_b32_e64 v25, v18, v27, s[26:27]
	v_cndmask_b32_e64 v26, v19, v31, s[24:25]
	v_cmp_class_f32_e64 s[18:19], v17, v15
	v_cndmask_b32_e64 v19, v20, v17, s[18:19]
	v_cndmask_b32_e32 v18, v21, v22, vcc
	v_mul_f32_e32 v17, 0x37800000, v25
	v_mul_f32_e32 v20, 0x37800000, v26
	v_cmp_gt_f32_e64 s[14:15], v6, v8
	v_cmp_gt_f32_e64 s[16:17], v7, v9
	v_cmp_ngt_f32_e64 s[6:7], v7, v9
	v_cmp_ngt_f32_e64 s[8:9], v6, v8
	v_pk_mul_f32 v[8:9], v[8:9], v[18:19]
	v_cndmask_b32_e64 v17, v25, v17, s[22:23]
	v_cndmask_b32_e64 v18, v26, v20, s[20:21]
	v_cmp_class_f32_e32 vcc, v24, v15
	v_cmp_class_f32_e64 s[18:19], v23, v15
	v_cndmask_b32_e64 v19, v17, v23, s[18:19]
	v_cndmask_b32_e32 v18, v18, v24, vcc
	v_pk_mul_f32 v[6:7], v[6:7], v[18:19]
	s_or_b64 vcc, s[16:17], s[10:11]
	s_or_b64 s[14:15], s[14:15], s[12:13]
	v_cndmask_b32_e32 v18, v9, v7, vcc
	s_and_b64 s[10:11], s[6:7], s[10:11]
	v_cndmask_b32_e64 v17, v8, v6, s[14:15]
	s_and_b64 s[12:13], s[8:9], s[12:13]
	v_cndmask_b32_e64 v18, v18, 0, s[10:11]
	v_cndmask_b32_e64 v17, v17, 0, s[12:13]
	v_cmp_lt_f32_e64 s[10:11], s40, v18
	v_cmp_lt_f32_e32 vcc, s33, v17
	s_and_b64 s[12:13], s[10:11], s[6:7]
	s_and_b64 s[8:9], vcc, s[8:9]
	s_and_b64 s[6:7], s[12:13], s[2:3]
	v_cndmask_b32_e64 v7, v7, v9, s[6:7]
	s_and_b64 s[6:7], s[8:9], s[4:5]
	s_xor_b64 s[14:15], s[8:9], -1
	s_xor_b64 s[12:13], s[12:13], -1
	v_cndmask_b32_e64 v6, v6, v8, s[6:7]
	s_or_b64 s[2:3], s[12:13], s[2:3]
	s_or_b64 s[4:5], s[14:15], s[4:5]
	v_cmp_lt_f32_e64 s[6:7], s42, v6
	v_cmp_lt_f32_e64 s[8:9], s42, v7
	s_and_b64 s[4:5], vcc, s[4:5]
	s_and_b64 s[2:3], s[10:11], s[2:3]
	s_and_b64 s[4:5], s[4:5], s[6:7]
	;; [unrolled: 1-line block ×3, first 2 shown]
	v_cndmask_b32_e64 v6, 0, 1, s[4:5]
	v_cndmask_b32_e64 v7, 0, 1, s[2:3]
	v_add_u32_e32 v1, v1, v7
	s_or_b64 s[38:39], s[0:1], s[38:39]
	v_add_u32_e32 v13, v13, v6
	s_andn2_b64 exec, exec, s[38:39]
	s_cbranch_execnz .LBB17_4
; %bb.5:
	s_or_b64 exec, exec, s[38:39]
	v_cmp_ne_u32_e32 vcc, v11, v12
	v_lshl_add_u32 v0, v12, 6, v0
	v_add_u32_e32 v8, v13, v1
	s_orn2_b64 s[0:1], vcc, exec
.LBB17_6:
	s_or_b64 exec, exec, s[36:37]
	s_and_saveexec_b64 s[4:5], s[0:1]
	s_cbranch_execz .LBB17_26
; %bb.7:
	v_ashrrev_i32_e32 v1, 31, v0
	v_lshlrev_b64 v[4:5], 3, v[0:1]
	s_waitcnt lgkmcnt(0)
	v_mov_b32_e32 v1, s35
	v_add_co_u32_e32 v4, vcc, s34, v4
	v_addc_co_u32_e32 v5, vcc, v1, v5, vcc
	s_mov_b64 s[6:7], 0
	s_mov_b32 s12, 0xf800000
	v_mov_b32_e32 v1, 0x260
	s_mov_b32 s13, 0x800000
	s_branch .LBB17_10
.LBB17_8:                               ;   in Loop: Header=BB17_10 Depth=1
	s_or_b64 exec, exec, s[0:1]
.LBB17_9:                               ;   in Loop: Header=BB17_10 Depth=1
	s_or_b64 exec, exec, s[2:3]
	v_add_u32_e32 v0, 64, v0
	v_add_co_u32_e32 v4, vcc, 0x200, v4
	v_cmp_ge_i32_e64 s[0:1], v0, v10
	s_or_b64 s[6:7], s[0:1], s[6:7]
	v_addc_co_u32_e32 v5, vcc, 0, v5, vcc
	s_andn2_b64 exec, exec, s[6:7]
	s_cbranch_execz .LBB17_25
.LBB17_10:                              ; =>This Inner Loop Header: Depth=1
	global_load_dwordx2 v[6:7], v[4:5], off
                                        ; implicit-def: $vgpr11
	s_waitcnt vmcnt(0)
	v_cmp_gt_f32_e32 vcc, 0, v6
	v_cndmask_b32_e64 v6, v6, -v6, vcc
	v_cmp_gt_f32_e32 vcc, 0, v7
	v_cndmask_b32_e64 v9, v7, -v7, vcc
	v_cmp_ngt_f32_e64 s[0:1], v6, v9
	s_and_saveexec_b64 s[2:3], s[0:1]
	s_xor_b64 s[8:9], exec, s[2:3]
	s_cbranch_execnz .LBB17_13
; %bb.11:                               ;   in Loop: Header=BB17_10 Depth=1
	s_andn2_saveexec_b64 s[8:9], s[8:9]
	s_cbranch_execnz .LBB17_16
.LBB17_12:                              ;   in Loop: Header=BB17_10 Depth=1
	s_or_b64 exec, exec, s[8:9]
	v_cmp_lt_f32_e32 vcc, s33, v11
	s_and_saveexec_b64 s[2:3], vcc
	s_cbranch_execz .LBB17_9
	s_branch .LBB17_17
.LBB17_13:                              ;   in Loop: Header=BB17_10 Depth=1
	v_cmp_neq_f32_e32 vcc, 0, v7
	v_mov_b32_e32 v11, 0
	s_and_saveexec_b64 s[10:11], vcc
	s_cbranch_execz .LBB17_15
; %bb.14:                               ;   in Loop: Header=BB17_10 Depth=1
	v_div_scale_f32 v11, s[2:3], v9, v9, v6
	v_rcp_f32_e32 v12, v11
	v_div_scale_f32 v13, vcc, v6, v9, v6
	v_fma_f32 v14, -v11, v12, 1.0
	v_fmac_f32_e32 v12, v14, v12
	v_mul_f32_e32 v14, v13, v12
	v_fma_f32 v15, -v11, v14, v13
	v_fmac_f32_e32 v14, v15, v12
	v_fma_f32 v11, -v11, v14, v13
	v_div_fmas_f32 v11, v11, v12, v14
	v_div_fixup_f32 v11, v11, v9, v6
	v_fma_f32 v11, v11, v11, 1.0
	v_mul_f32_e32 v12, 0x4f800000, v11
	v_cmp_gt_f32_e32 vcc, s12, v11
	v_cndmask_b32_e32 v11, v11, v12, vcc
	v_sqrt_f32_e32 v12, v11
	v_add_u32_e32 v13, -1, v12
	v_fma_f32 v14, -v13, v12, v11
	v_cmp_ge_f32_e64 s[2:3], 0, v14
	v_add_u32_e32 v14, 1, v12
	v_cndmask_b32_e64 v13, v12, v13, s[2:3]
	v_fma_f32 v12, -v14, v12, v11
	v_cmp_lt_f32_e64 s[2:3], 0, v12
	v_cndmask_b32_e64 v12, v13, v14, s[2:3]
	v_mul_f32_e32 v13, 0x37800000, v12
	v_cndmask_b32_e32 v12, v12, v13, vcc
	v_cmp_class_f32_e32 vcc, v11, v1
	v_cndmask_b32_e32 v11, v12, v11, vcc
	v_mul_f32_e32 v11, v9, v11
.LBB17_15:                              ;   in Loop: Header=BB17_10 Depth=1
	s_or_b64 exec, exec, s[10:11]
	s_andn2_saveexec_b64 s[8:9], s[8:9]
	s_cbranch_execz .LBB17_12
.LBB17_16:                              ;   in Loop: Header=BB17_10 Depth=1
	v_div_scale_f32 v11, s[2:3], v6, v6, v9
	v_rcp_f32_e32 v12, v11
	v_div_scale_f32 v13, vcc, v9, v6, v9
	v_fma_f32 v14, -v11, v12, 1.0
	v_fmac_f32_e32 v12, v14, v12
	v_mul_f32_e32 v14, v13, v12
	v_fma_f32 v15, -v11, v14, v13
	v_fmac_f32_e32 v14, v15, v12
	v_fma_f32 v11, -v11, v14, v13
	v_div_fmas_f32 v11, v11, v12, v14
	v_div_fixup_f32 v11, v11, v6, v9
	v_fma_f32 v11, v11, v11, 1.0
	v_mul_f32_e32 v12, 0x4f800000, v11
	v_cmp_gt_f32_e32 vcc, s12, v11
	v_cndmask_b32_e32 v11, v11, v12, vcc
	v_sqrt_f32_e32 v12, v11
	v_add_u32_e32 v13, -1, v12
	v_fma_f32 v14, -v13, v12, v11
	v_cmp_ge_f32_e64 s[2:3], 0, v14
	v_add_u32_e32 v14, 1, v12
	v_cndmask_b32_e64 v13, v12, v13, s[2:3]
	v_fma_f32 v12, -v14, v12, v11
	v_cmp_lt_f32_e64 s[2:3], 0, v12
	v_cndmask_b32_e64 v12, v13, v14, s[2:3]
	v_mul_f32_e32 v13, 0x37800000, v12
	v_cndmask_b32_e32 v12, v12, v13, vcc
	v_cmp_class_f32_e32 vcc, v11, v1
	v_cndmask_b32_e32 v11, v12, v11, vcc
	v_mul_f32_e32 v11, v6, v11
	s_or_b64 exec, exec, s[8:9]
	v_cmp_lt_f32_e32 vcc, s33, v11
	s_and_saveexec_b64 s[2:3], vcc
	s_cbranch_execz .LBB17_9
.LBB17_17:                              ;   in Loop: Header=BB17_10 Depth=1
                                        ; implicit-def: $vgpr11
	s_and_saveexec_b64 s[8:9], s[0:1]
	s_xor_b64 s[8:9], exec, s[8:9]
	s_cbranch_execnz .LBB17_20
; %bb.18:                               ;   in Loop: Header=BB17_10 Depth=1
	s_andn2_saveexec_b64 s[8:9], s[8:9]
	s_cbranch_execnz .LBB17_23
.LBB17_19:                              ;   in Loop: Header=BB17_10 Depth=1
	s_or_b64 exec, exec, s[8:9]
	v_cmp_lt_f32_e32 vcc, s13, v11
	s_and_saveexec_b64 s[0:1], vcc
	s_cbranch_execz .LBB17_8
	s_branch .LBB17_24
.LBB17_20:                              ;   in Loop: Header=BB17_10 Depth=1
	v_cmp_neq_f32_e32 vcc, 0, v7
	v_mov_b32_e32 v11, 0
	s_and_saveexec_b64 s[10:11], vcc
	s_cbranch_execz .LBB17_22
; %bb.21:                               ;   in Loop: Header=BB17_10 Depth=1
	v_div_scale_f32 v7, s[0:1], v9, v9, v6
	v_rcp_f32_e32 v11, v7
	v_div_scale_f32 v12, vcc, v6, v9, v6
	v_fma_f32 v13, -v7, v11, 1.0
	v_fmac_f32_e32 v11, v13, v11
	v_mul_f32_e32 v13, v12, v11
	v_fma_f32 v14, -v7, v13, v12
	v_fmac_f32_e32 v13, v14, v11
	v_fma_f32 v7, -v7, v13, v12
	v_div_fmas_f32 v7, v7, v11, v13
	v_div_fixup_f32 v6, v7, v9, v6
	v_fma_f32 v6, v6, v6, 1.0
	v_mul_f32_e32 v7, 0x4f800000, v6
	v_cmp_gt_f32_e32 vcc, s12, v6
	v_cndmask_b32_e32 v6, v6, v7, vcc
	v_sqrt_f32_e32 v7, v6
	v_add_u32_e32 v11, -1, v7
	v_fma_f32 v12, -v11, v7, v6
	v_cmp_ge_f32_e64 s[0:1], 0, v12
	v_add_u32_e32 v12, 1, v7
	v_cndmask_b32_e64 v11, v7, v11, s[0:1]
	v_fma_f32 v7, -v12, v7, v6
	v_cmp_lt_f32_e64 s[0:1], 0, v7
	v_cndmask_b32_e64 v7, v11, v12, s[0:1]
	v_mul_f32_e32 v11, 0x37800000, v7
	v_cndmask_b32_e32 v7, v7, v11, vcc
	v_cmp_class_f32_e32 vcc, v6, v1
	v_cndmask_b32_e32 v6, v7, v6, vcc
	v_mul_f32_e32 v11, v9, v6
.LBB17_22:                              ;   in Loop: Header=BB17_10 Depth=1
	s_or_b64 exec, exec, s[10:11]
                                        ; implicit-def: $vgpr6
                                        ; implicit-def: $vgpr9
	s_andn2_saveexec_b64 s[8:9], s[8:9]
	s_cbranch_execz .LBB17_19
.LBB17_23:                              ;   in Loop: Header=BB17_10 Depth=1
	v_div_scale_f32 v7, s[0:1], v6, v6, v9
	v_rcp_f32_e32 v11, v7
	v_div_scale_f32 v12, vcc, v9, v6, v9
	v_fma_f32 v13, -v7, v11, 1.0
	v_fmac_f32_e32 v11, v13, v11
	v_mul_f32_e32 v13, v12, v11
	v_fma_f32 v14, -v7, v13, v12
	v_fmac_f32_e32 v13, v14, v11
	v_fma_f32 v7, -v7, v13, v12
	v_div_fmas_f32 v7, v7, v11, v13
	v_div_fixup_f32 v7, v7, v6, v9
	v_fma_f32 v7, v7, v7, 1.0
	v_mul_f32_e32 v9, 0x4f800000, v7
	v_cmp_gt_f32_e32 vcc, s12, v7
	v_cndmask_b32_e32 v7, v7, v9, vcc
	v_sqrt_f32_e32 v9, v7
	v_add_u32_e32 v11, -1, v9
	v_fma_f32 v12, -v11, v9, v7
	v_cmp_ge_f32_e64 s[0:1], 0, v12
	v_add_u32_e32 v12, 1, v9
	v_cndmask_b32_e64 v11, v9, v11, s[0:1]
	v_fma_f32 v9, -v12, v9, v7
	v_cmp_lt_f32_e64 s[0:1], 0, v9
	v_cndmask_b32_e64 v9, v11, v12, s[0:1]
	v_mul_f32_e32 v11, 0x37800000, v9
	v_cndmask_b32_e32 v9, v9, v11, vcc
	v_cmp_class_f32_e32 vcc, v7, v1
	v_cndmask_b32_e32 v7, v9, v7, vcc
	v_mul_f32_e32 v11, v6, v7
	s_or_b64 exec, exec, s[8:9]
	v_cmp_lt_f32_e32 vcc, s13, v11
	s_and_saveexec_b64 s[0:1], vcc
	s_cbranch_execz .LBB17_8
.LBB17_24:                              ;   in Loop: Header=BB17_10 Depth=1
	v_add_u32_e32 v8, 1, v8
	s_branch .LBB17_8
.LBB17_25:
	s_or_b64 exec, exec, s[6:7]
.LBB17_26:
	s_or_b64 exec, exec, s[4:5]
.LBB17_27:
	s_or_b64 exec, exec, s[28:29]
	v_mov_b32_dpp v0, v8 row_shr:1 row_mask:0xf bank_mask:0xf
	v_add_u32_e32 v0, v0, v8
	v_bfrev_b32_e32 v4, 0.5
	s_nop 0
	v_mov_b32_dpp v1, v0 row_shr:2 row_mask:0xf bank_mask:0xf
	v_add_u32_e32 v0, v0, v1
	s_nop 1
	v_mov_b32_dpp v1, v0 row_shr:4 row_mask:0xf bank_mask:0xe
	v_add_u32_e32 v0, v0, v1
	s_nop 1
	v_mov_b32_dpp v1, v0 row_shr:8 row_mask:0xf bank_mask:0xc
	v_add_u32_e32 v0, v0, v1
	s_nop 1
	v_mov_b32_dpp v1, v0 row_bcast:15 row_mask:0xa bank_mask:0xf
	v_add_u32_e32 v0, v0, v1
	s_nop 1
	v_mov_b32_dpp v1, v0 row_bcast:31 row_mask:0xc bank_mask:0xf
	v_add_u32_e32 v0, v0, v1
	v_mbcnt_lo_u32_b32 v1, -1, 0
	v_mbcnt_hi_u32_b32 v1, -1, v1
	v_lshl_or_b32 v1, v1, 2, v4
	ds_bpermute_b32 v4, v1, v0
	v_mov_b32_e32 v1, s31
	v_add_co_u32_e32 v0, vcc, s30, v2
	v_addc_co_u32_e32 v1, vcc, v1, v3, vcc
	s_waitcnt lgkmcnt(0)
	global_store_dword v[0:1], v4, off
.LBB17_28:
	s_endpgm
	.section	.rodata,"a",@progbits
	.p2align	6, 0x0
	.amdhsa_kernel _ZN9rocsparseL19nnz_compress_kernelILi1024ELi16ELi64E21rocsparse_complex_numIfEEEvi21rocsparse_index_base_PKT2_PKiPiS4_
		.amdhsa_group_segment_fixed_size 0
		.amdhsa_private_segment_fixed_size 0
		.amdhsa_kernarg_size 40
		.amdhsa_user_sgpr_count 6
		.amdhsa_user_sgpr_private_segment_buffer 1
		.amdhsa_user_sgpr_dispatch_ptr 0
		.amdhsa_user_sgpr_queue_ptr 0
		.amdhsa_user_sgpr_kernarg_segment_ptr 1
		.amdhsa_user_sgpr_dispatch_id 0
		.amdhsa_user_sgpr_flat_scratch_init 0
		.amdhsa_user_sgpr_kernarg_preload_length 0
		.amdhsa_user_sgpr_kernarg_preload_offset 0
		.amdhsa_user_sgpr_private_segment_size 0
		.amdhsa_uses_dynamic_stack 0
		.amdhsa_system_sgpr_private_segment_wavefront_offset 0
		.amdhsa_system_sgpr_workgroup_id_x 1
		.amdhsa_system_sgpr_workgroup_id_y 0
		.amdhsa_system_sgpr_workgroup_id_z 0
		.amdhsa_system_sgpr_workgroup_info 0
		.amdhsa_system_vgpr_workitem_id 0
		.amdhsa_next_free_vgpr 37
		.amdhsa_next_free_sgpr 43
		.amdhsa_accum_offset 40
		.amdhsa_reserve_vcc 1
		.amdhsa_reserve_flat_scratch 0
		.amdhsa_float_round_mode_32 0
		.amdhsa_float_round_mode_16_64 0
		.amdhsa_float_denorm_mode_32 3
		.amdhsa_float_denorm_mode_16_64 3
		.amdhsa_dx10_clamp 1
		.amdhsa_ieee_mode 1
		.amdhsa_fp16_overflow 0
		.amdhsa_tg_split 0
		.amdhsa_exception_fp_ieee_invalid_op 0
		.amdhsa_exception_fp_denorm_src 0
		.amdhsa_exception_fp_ieee_div_zero 0
		.amdhsa_exception_fp_ieee_overflow 0
		.amdhsa_exception_fp_ieee_underflow 0
		.amdhsa_exception_fp_ieee_inexact 0
		.amdhsa_exception_int_div_zero 0
	.end_amdhsa_kernel
	.section	.text._ZN9rocsparseL19nnz_compress_kernelILi1024ELi16ELi64E21rocsparse_complex_numIfEEEvi21rocsparse_index_base_PKT2_PKiPiS4_,"axG",@progbits,_ZN9rocsparseL19nnz_compress_kernelILi1024ELi16ELi64E21rocsparse_complex_numIfEEEvi21rocsparse_index_base_PKT2_PKiPiS4_,comdat
.Lfunc_end17:
	.size	_ZN9rocsparseL19nnz_compress_kernelILi1024ELi16ELi64E21rocsparse_complex_numIfEEEvi21rocsparse_index_base_PKT2_PKiPiS4_, .Lfunc_end17-_ZN9rocsparseL19nnz_compress_kernelILi1024ELi16ELi64E21rocsparse_complex_numIfEEEvi21rocsparse_index_base_PKT2_PKiPiS4_
                                        ; -- End function
	.section	.AMDGPU.csdata,"",@progbits
; Kernel info:
; codeLenInByte = 2664
; NumSgprs: 47
; NumVgprs: 37
; NumAgprs: 0
; TotalNumVgprs: 37
; ScratchSize: 0
; MemoryBound: 0
; FloatMode: 240
; IeeeMode: 1
; LDSByteSize: 0 bytes/workgroup (compile time only)
; SGPRBlocks: 5
; VGPRBlocks: 4
; NumSGPRsForWavesPerEU: 47
; NumVGPRsForWavesPerEU: 37
; AccumOffset: 40
; Occupancy: 8
; WaveLimiterHint : 0
; COMPUTE_PGM_RSRC2:SCRATCH_EN: 0
; COMPUTE_PGM_RSRC2:USER_SGPR: 6
; COMPUTE_PGM_RSRC2:TRAP_HANDLER: 0
; COMPUTE_PGM_RSRC2:TGID_X_EN: 1
; COMPUTE_PGM_RSRC2:TGID_Y_EN: 0
; COMPUTE_PGM_RSRC2:TGID_Z_EN: 0
; COMPUTE_PGM_RSRC2:TIDIG_COMP_CNT: 0
; COMPUTE_PGM_RSRC3_GFX90A:ACCUM_OFFSET: 9
; COMPUTE_PGM_RSRC3_GFX90A:TG_SPLIT: 0
	.section	.text._ZN9rocsparseL19nnz_compress_kernelILi1024ELi512ELi2E21rocsparse_complex_numIdEEEvi21rocsparse_index_base_PKT2_PKiPiS4_,"axG",@progbits,_ZN9rocsparseL19nnz_compress_kernelILi1024ELi512ELi2E21rocsparse_complex_numIdEEEvi21rocsparse_index_base_PKT2_PKiPiS4_,comdat
	.globl	_ZN9rocsparseL19nnz_compress_kernelILi1024ELi512ELi2E21rocsparse_complex_numIdEEEvi21rocsparse_index_base_PKT2_PKiPiS4_ ; -- Begin function _ZN9rocsparseL19nnz_compress_kernelILi1024ELi512ELi2E21rocsparse_complex_numIdEEEvi21rocsparse_index_base_PKT2_PKiPiS4_
	.p2align	8
	.type	_ZN9rocsparseL19nnz_compress_kernelILi1024ELi512ELi2E21rocsparse_complex_numIdEEEvi21rocsparse_index_base_PKT2_PKiPiS4_,@function
_ZN9rocsparseL19nnz_compress_kernelILi1024ELi512ELi2E21rocsparse_complex_numIdEEEvi21rocsparse_index_base_PKT2_PKiPiS4_: ; @_ZN9rocsparseL19nnz_compress_kernelILi1024ELi512ELi2E21rocsparse_complex_numIdEEEvi21rocsparse_index_base_PKT2_PKiPiS4_
; %bb.0:
	s_load_dwordx2 s[8:9], s[4:5], 0x0
	v_lshrrev_b32_e32 v1, 1, v0
	v_lshl_or_b32 v2, s6, 9, v1
	s_waitcnt lgkmcnt(0)
	v_cmp_gt_i32_e32 vcc, s8, v2
	s_and_saveexec_b64 s[0:1], vcc
	s_cbranch_execz .LBB18_22
; %bb.1:
	s_load_dwordx4 s[0:3], s[4:5], 0x10
	v_ashrrev_i32_e32 v3, 31, v2
	v_lshlrev_b64 v[4:5], 2, v[2:3]
	v_and_b32_e32 v0, 1, v0
	v_subrev_u32_e32 v0, s9, v0
	s_waitcnt lgkmcnt(0)
	v_mov_b32_e32 v1, s1
	v_add_co_u32_e32 v2, vcc, s0, v4
	v_addc_co_u32_e32 v3, vcc, v1, v5, vcc
	global_load_dwordx2 v[2:3], v[2:3], off
	v_mov_b32_e32 v7, 0
	s_waitcnt vmcnt(0)
	v_subrev_u32_e32 v14, s9, v3
	v_add_u32_e32 v6, v2, v0
	v_cmp_lt_i32_e32 vcc, v6, v14
	s_and_saveexec_b64 s[6:7], vcc
	s_cbranch_execz .LBB18_21
; %bb.2:
	s_load_dwordx2 s[0:1], s[4:5], 0x8
	s_load_dwordx2 s[8:9], s[4:5], 0x20
	v_ashrrev_i32_e32 v7, 31, v6
	v_lshlrev_b64 v[0:1], 4, v[6:7]
	s_mov_b32 s10, 0
	s_waitcnt lgkmcnt(0)
	v_mov_b32_e32 v2, s1
	v_add_co_u32_e32 v0, vcc, s0, v0
	v_addc_co_u32_e32 v1, vcc, v1, v2, vcc
	v_add_co_u32_e32 v8, vcc, 8, v0
	s_mov_b32 s12, 0
	v_addc_co_u32_e32 v9, vcc, 0, v1, vcc
	s_mov_b64 s[4:5], 0
	v_mov_b32_e32 v7, 0
	s_brev_b32 s11, 8
	v_mov_b32_e32 v15, 0x260
	s_mov_b32 s13, 0x38100000
	v_mov_b32_e32 v16, 0xffffff80
	s_branch .LBB18_5
.LBB18_3:                               ;   in Loop: Header=BB18_5 Depth=1
	s_or_b64 exec, exec, s[0:1]
.LBB18_4:                               ;   in Loop: Header=BB18_5 Depth=1
	s_or_b64 exec, exec, s[14:15]
	v_add_u32_e32 v6, 2, v6
	v_cmp_ge_i32_e32 vcc, v6, v14
	s_or_b64 s[4:5], vcc, s[4:5]
	v_add_co_u32_e32 v8, vcc, 32, v8
	v_addc_co_u32_e32 v9, vcc, 0, v9, vcc
	s_andn2_b64 exec, exec, s[4:5]
	s_cbranch_execz .LBB18_20
.LBB18_5:                               ; =>This Inner Loop Header: Depth=1
	global_load_dwordx4 v[0:3], v[8:9], off offset:-8
                                        ; implicit-def: $vgpr12_vgpr13
	s_waitcnt vmcnt(0)
	v_xor_b32_e32 v10, 0x80000000, v1
	v_cmp_gt_f64_e32 vcc, 0, v[0:1]
	v_xor_b32_e32 v11, 0x80000000, v3
	v_cndmask_b32_e32 v1, v1, v10, vcc
	v_cmp_gt_f64_e32 vcc, 0, v[2:3]
	v_cndmask_b32_e32 v11, v3, v11, vcc
	v_mov_b32_e32 v10, v2
	v_cmp_ngt_f64_e64 s[0:1], v[0:1], v[10:11]
	s_and_saveexec_b64 s[14:15], s[0:1]
	s_xor_b64 s[14:15], exec, s[14:15]
	s_cbranch_execnz .LBB18_8
; %bb.6:                                ;   in Loop: Header=BB18_5 Depth=1
	s_andn2_saveexec_b64 s[14:15], s[14:15]
	s_cbranch_execnz .LBB18_11
.LBB18_7:                               ;   in Loop: Header=BB18_5 Depth=1
	s_or_b64 exec, exec, s[14:15]
	v_cmp_lt_f64_e32 vcc, s[8:9], v[12:13]
	s_and_saveexec_b64 s[14:15], vcc
	s_cbranch_execz .LBB18_4
	s_branch .LBB18_12
.LBB18_8:                               ;   in Loop: Header=BB18_5 Depth=1
	v_cmp_neq_f64_e32 vcc, 0, v[2:3]
	v_pk_mov_b32 v[12:13], 0, 0
	s_and_saveexec_b64 s[16:17], vcc
	s_cbranch_execz .LBB18_10
; %bb.9:                                ;   in Loop: Header=BB18_5 Depth=1
	v_div_scale_f64 v[12:13], s[18:19], v[10:11], v[10:11], v[0:1]
	v_rcp_f64_e32 v[18:19], v[12:13]
	v_div_scale_f64 v[20:21], vcc, v[0:1], v[10:11], v[0:1]
	v_fma_f64 v[22:23], -v[12:13], v[18:19], 1.0
	v_fmac_f64_e32 v[18:19], v[18:19], v[22:23]
	v_fma_f64 v[22:23], -v[12:13], v[18:19], 1.0
	v_fmac_f64_e32 v[18:19], v[18:19], v[22:23]
	v_mul_f64 v[22:23], v[20:21], v[18:19]
	v_fma_f64 v[12:13], -v[12:13], v[22:23], v[20:21]
	v_div_fmas_f64 v[12:13], v[12:13], v[18:19], v[22:23]
	v_div_fixup_f64 v[12:13], v[12:13], v[10:11], v[0:1]
	v_fma_f64 v[12:13], v[12:13], v[12:13], 1.0
	v_cmp_gt_f64_e32 vcc, s[10:11], v[12:13]
	v_cndmask_b32_e64 v17, 0, 1, vcc
	v_lshlrev_b32_e32 v17, 8, v17
	v_ldexp_f64 v[12:13], v[12:13], v17
	v_rsq_f64_e32 v[18:19], v[12:13]
	v_cndmask_b32_e32 v17, 0, v16, vcc
	v_cmp_class_f64_e32 vcc, v[12:13], v15
	v_mul_f64 v[20:21], v[12:13], v[18:19]
	v_mul_f64 v[18:19], v[18:19], 0.5
	v_fma_f64 v[22:23], -v[18:19], v[20:21], 0.5
	v_fmac_f64_e32 v[20:21], v[20:21], v[22:23]
	v_fma_f64 v[24:25], -v[20:21], v[20:21], v[12:13]
	v_fmac_f64_e32 v[18:19], v[18:19], v[22:23]
	v_fmac_f64_e32 v[20:21], v[24:25], v[18:19]
	v_fma_f64 v[22:23], -v[20:21], v[20:21], v[12:13]
	v_fmac_f64_e32 v[20:21], v[22:23], v[18:19]
	v_ldexp_f64 v[18:19], v[20:21], v17
	v_cndmask_b32_e32 v13, v19, v13, vcc
	v_cndmask_b32_e32 v12, v18, v12, vcc
	v_mul_f64 v[12:13], v[10:11], v[12:13]
.LBB18_10:                              ;   in Loop: Header=BB18_5 Depth=1
	s_or_b64 exec, exec, s[16:17]
	s_andn2_saveexec_b64 s[14:15], s[14:15]
	s_cbranch_execz .LBB18_7
.LBB18_11:                              ;   in Loop: Header=BB18_5 Depth=1
	v_div_scale_f64 v[12:13], s[16:17], v[0:1], v[0:1], v[10:11]
	v_rcp_f64_e32 v[18:19], v[12:13]
	v_div_scale_f64 v[20:21], vcc, v[10:11], v[0:1], v[10:11]
	v_fma_f64 v[22:23], -v[12:13], v[18:19], 1.0
	v_fmac_f64_e32 v[18:19], v[18:19], v[22:23]
	v_fma_f64 v[22:23], -v[12:13], v[18:19], 1.0
	v_fmac_f64_e32 v[18:19], v[18:19], v[22:23]
	v_mul_f64 v[22:23], v[20:21], v[18:19]
	v_fma_f64 v[12:13], -v[12:13], v[22:23], v[20:21]
	v_div_fmas_f64 v[12:13], v[12:13], v[18:19], v[22:23]
	v_div_fixup_f64 v[12:13], v[12:13], v[0:1], v[10:11]
	v_fma_f64 v[12:13], v[12:13], v[12:13], 1.0
	v_cmp_gt_f64_e32 vcc, s[10:11], v[12:13]
	v_cndmask_b32_e64 v17, 0, 1, vcc
	v_lshlrev_b32_e32 v17, 8, v17
	v_ldexp_f64 v[12:13], v[12:13], v17
	v_rsq_f64_e32 v[18:19], v[12:13]
	v_cndmask_b32_e32 v17, 0, v16, vcc
	v_cmp_class_f64_e32 vcc, v[12:13], v15
	v_mul_f64 v[20:21], v[12:13], v[18:19]
	v_mul_f64 v[18:19], v[18:19], 0.5
	v_fma_f64 v[22:23], -v[18:19], v[20:21], 0.5
	v_fmac_f64_e32 v[20:21], v[20:21], v[22:23]
	v_fma_f64 v[24:25], -v[20:21], v[20:21], v[12:13]
	v_fmac_f64_e32 v[18:19], v[18:19], v[22:23]
	v_fmac_f64_e32 v[20:21], v[24:25], v[18:19]
	v_fma_f64 v[22:23], -v[20:21], v[20:21], v[12:13]
	v_fmac_f64_e32 v[20:21], v[22:23], v[18:19]
	v_ldexp_f64 v[18:19], v[20:21], v17
	v_cndmask_b32_e32 v13, v19, v13, vcc
	v_cndmask_b32_e32 v12, v18, v12, vcc
	v_mul_f64 v[12:13], v[0:1], v[12:13]
	s_or_b64 exec, exec, s[14:15]
	v_cmp_lt_f64_e32 vcc, s[8:9], v[12:13]
	s_and_saveexec_b64 s[14:15], vcc
	s_cbranch_execz .LBB18_4
.LBB18_12:                              ;   in Loop: Header=BB18_5 Depth=1
                                        ; implicit-def: $vgpr12_vgpr13
	s_and_saveexec_b64 s[16:17], s[0:1]
	s_xor_b64 s[0:1], exec, s[16:17]
	s_cbranch_execnz .LBB18_15
; %bb.13:                               ;   in Loop: Header=BB18_5 Depth=1
	s_andn2_saveexec_b64 s[0:1], s[0:1]
	s_cbranch_execnz .LBB18_18
.LBB18_14:                              ;   in Loop: Header=BB18_5 Depth=1
	s_or_b64 exec, exec, s[0:1]
	v_cmp_lt_f64_e32 vcc, s[12:13], v[12:13]
	s_and_saveexec_b64 s[0:1], vcc
	s_cbranch_execz .LBB18_3
	s_branch .LBB18_19
.LBB18_15:                              ;   in Loop: Header=BB18_5 Depth=1
	v_cmp_neq_f64_e32 vcc, 0, v[2:3]
	v_pk_mov_b32 v[12:13], 0, 0
	s_and_saveexec_b64 s[16:17], vcc
	s_cbranch_execz .LBB18_17
; %bb.16:                               ;   in Loop: Header=BB18_5 Depth=1
	v_div_scale_f64 v[2:3], s[18:19], v[10:11], v[10:11], v[0:1]
	v_rcp_f64_e32 v[12:13], v[2:3]
	v_div_scale_f64 v[18:19], vcc, v[0:1], v[10:11], v[0:1]
	v_fma_f64 v[20:21], -v[2:3], v[12:13], 1.0
	v_fmac_f64_e32 v[12:13], v[12:13], v[20:21]
	v_fma_f64 v[20:21], -v[2:3], v[12:13], 1.0
	v_fmac_f64_e32 v[12:13], v[12:13], v[20:21]
	v_mul_f64 v[20:21], v[18:19], v[12:13]
	v_fma_f64 v[2:3], -v[2:3], v[20:21], v[18:19]
	v_div_fmas_f64 v[2:3], v[2:3], v[12:13], v[20:21]
	v_div_fixup_f64 v[0:1], v[2:3], v[10:11], v[0:1]
	v_fma_f64 v[0:1], v[0:1], v[0:1], 1.0
	v_cmp_gt_f64_e32 vcc, s[10:11], v[0:1]
	v_cndmask_b32_e64 v2, 0, 1, vcc
	v_lshlrev_b32_e32 v2, 8, v2
	v_ldexp_f64 v[0:1], v[0:1], v2
	v_rsq_f64_e32 v[2:3], v[0:1]
	v_mul_f64 v[12:13], v[0:1], v[2:3]
	v_mul_f64 v[2:3], v[2:3], 0.5
	v_fma_f64 v[18:19], -v[2:3], v[12:13], 0.5
	v_fmac_f64_e32 v[12:13], v[12:13], v[18:19]
	v_fma_f64 v[20:21], -v[12:13], v[12:13], v[0:1]
	v_fmac_f64_e32 v[2:3], v[2:3], v[18:19]
	v_fmac_f64_e32 v[12:13], v[20:21], v[2:3]
	v_fma_f64 v[18:19], -v[12:13], v[12:13], v[0:1]
	v_fmac_f64_e32 v[12:13], v[18:19], v[2:3]
	v_cndmask_b32_e32 v2, 0, v16, vcc
	v_ldexp_f64 v[2:3], v[12:13], v2
	v_cmp_class_f64_e32 vcc, v[0:1], v15
	v_cndmask_b32_e32 v1, v3, v1, vcc
	v_cndmask_b32_e32 v0, v2, v0, vcc
	v_mul_f64 v[12:13], v[10:11], v[0:1]
.LBB18_17:                              ;   in Loop: Header=BB18_5 Depth=1
	s_or_b64 exec, exec, s[16:17]
                                        ; implicit-def: $vgpr0_vgpr1
                                        ; implicit-def: $vgpr10_vgpr11
	s_andn2_saveexec_b64 s[0:1], s[0:1]
	s_cbranch_execz .LBB18_14
.LBB18_18:                              ;   in Loop: Header=BB18_5 Depth=1
	v_div_scale_f64 v[2:3], s[16:17], v[0:1], v[0:1], v[10:11]
	v_rcp_f64_e32 v[12:13], v[2:3]
	v_div_scale_f64 v[18:19], vcc, v[10:11], v[0:1], v[10:11]
	v_fma_f64 v[20:21], -v[2:3], v[12:13], 1.0
	v_fmac_f64_e32 v[12:13], v[12:13], v[20:21]
	v_fma_f64 v[20:21], -v[2:3], v[12:13], 1.0
	v_fmac_f64_e32 v[12:13], v[12:13], v[20:21]
	v_mul_f64 v[20:21], v[18:19], v[12:13]
	v_fma_f64 v[2:3], -v[2:3], v[20:21], v[18:19]
	v_div_fmas_f64 v[2:3], v[2:3], v[12:13], v[20:21]
	v_div_fixup_f64 v[2:3], v[2:3], v[0:1], v[10:11]
	v_fma_f64 v[2:3], v[2:3], v[2:3], 1.0
	v_cmp_gt_f64_e32 vcc, s[10:11], v[2:3]
	v_cndmask_b32_e64 v10, 0, 1, vcc
	v_lshlrev_b32_e32 v10, 8, v10
	v_ldexp_f64 v[2:3], v[2:3], v10
	v_rsq_f64_e32 v[10:11], v[2:3]
	v_mul_f64 v[12:13], v[2:3], v[10:11]
	v_mul_f64 v[10:11], v[10:11], 0.5
	v_fma_f64 v[18:19], -v[10:11], v[12:13], 0.5
	v_fmac_f64_e32 v[12:13], v[12:13], v[18:19]
	v_fma_f64 v[20:21], -v[12:13], v[12:13], v[2:3]
	v_fmac_f64_e32 v[10:11], v[10:11], v[18:19]
	v_fmac_f64_e32 v[12:13], v[20:21], v[10:11]
	v_fma_f64 v[18:19], -v[12:13], v[12:13], v[2:3]
	v_fmac_f64_e32 v[12:13], v[18:19], v[10:11]
	v_cndmask_b32_e32 v10, 0, v16, vcc
	v_ldexp_f64 v[10:11], v[12:13], v10
	v_cmp_class_f64_e32 vcc, v[2:3], v15
	v_cndmask_b32_e32 v3, v11, v3, vcc
	v_cndmask_b32_e32 v2, v10, v2, vcc
	v_mul_f64 v[12:13], v[0:1], v[2:3]
	s_or_b64 exec, exec, s[0:1]
	v_cmp_lt_f64_e32 vcc, s[12:13], v[12:13]
	s_and_saveexec_b64 s[0:1], vcc
	s_cbranch_execz .LBB18_3
.LBB18_19:                              ;   in Loop: Header=BB18_5 Depth=1
	v_add_u32_e32 v7, 1, v7
	s_branch .LBB18_3
.LBB18_20:
	s_or_b64 exec, exec, s[4:5]
.LBB18_21:
	s_or_b64 exec, exec, s[6:7]
	v_mbcnt_lo_u32_b32 v1, -1, 0
	v_mov_b32_dpp v0, v7 row_shr:1 row_mask:0xf bank_mask:0xf
	v_mbcnt_hi_u32_b32 v1, -1, v1
	v_add_u32_e32 v0, v0, v7
	v_lshl_or_b32 v1, v1, 2, 4
	ds_bpermute_b32 v2, v1, v0
	v_mov_b32_e32 v1, s3
	v_add_co_u32_e32 v0, vcc, s2, v4
	v_addc_co_u32_e32 v1, vcc, v1, v5, vcc
	s_waitcnt lgkmcnt(0)
	global_store_dword v[0:1], v2, off
.LBB18_22:
	s_endpgm
	.section	.rodata,"a",@progbits
	.p2align	6, 0x0
	.amdhsa_kernel _ZN9rocsparseL19nnz_compress_kernelILi1024ELi512ELi2E21rocsparse_complex_numIdEEEvi21rocsparse_index_base_PKT2_PKiPiS4_
		.amdhsa_group_segment_fixed_size 0
		.amdhsa_private_segment_fixed_size 0
		.amdhsa_kernarg_size 48
		.amdhsa_user_sgpr_count 6
		.amdhsa_user_sgpr_private_segment_buffer 1
		.amdhsa_user_sgpr_dispatch_ptr 0
		.amdhsa_user_sgpr_queue_ptr 0
		.amdhsa_user_sgpr_kernarg_segment_ptr 1
		.amdhsa_user_sgpr_dispatch_id 0
		.amdhsa_user_sgpr_flat_scratch_init 0
		.amdhsa_user_sgpr_kernarg_preload_length 0
		.amdhsa_user_sgpr_kernarg_preload_offset 0
		.amdhsa_user_sgpr_private_segment_size 0
		.amdhsa_uses_dynamic_stack 0
		.amdhsa_system_sgpr_private_segment_wavefront_offset 0
		.amdhsa_system_sgpr_workgroup_id_x 1
		.amdhsa_system_sgpr_workgroup_id_y 0
		.amdhsa_system_sgpr_workgroup_id_z 0
		.amdhsa_system_sgpr_workgroup_info 0
		.amdhsa_system_vgpr_workitem_id 0
		.amdhsa_next_free_vgpr 26
		.amdhsa_next_free_sgpr 20
		.amdhsa_accum_offset 28
		.amdhsa_reserve_vcc 1
		.amdhsa_reserve_flat_scratch 0
		.amdhsa_float_round_mode_32 0
		.amdhsa_float_round_mode_16_64 0
		.amdhsa_float_denorm_mode_32 3
		.amdhsa_float_denorm_mode_16_64 3
		.amdhsa_dx10_clamp 1
		.amdhsa_ieee_mode 1
		.amdhsa_fp16_overflow 0
		.amdhsa_tg_split 0
		.amdhsa_exception_fp_ieee_invalid_op 0
		.amdhsa_exception_fp_denorm_src 0
		.amdhsa_exception_fp_ieee_div_zero 0
		.amdhsa_exception_fp_ieee_overflow 0
		.amdhsa_exception_fp_ieee_underflow 0
		.amdhsa_exception_fp_ieee_inexact 0
		.amdhsa_exception_int_div_zero 0
	.end_amdhsa_kernel
	.section	.text._ZN9rocsparseL19nnz_compress_kernelILi1024ELi512ELi2E21rocsparse_complex_numIdEEEvi21rocsparse_index_base_PKT2_PKiPiS4_,"axG",@progbits,_ZN9rocsparseL19nnz_compress_kernelILi1024ELi512ELi2E21rocsparse_complex_numIdEEEvi21rocsparse_index_base_PKT2_PKiPiS4_,comdat
.Lfunc_end18:
	.size	_ZN9rocsparseL19nnz_compress_kernelILi1024ELi512ELi2E21rocsparse_complex_numIdEEEvi21rocsparse_index_base_PKT2_PKiPiS4_, .Lfunc_end18-_ZN9rocsparseL19nnz_compress_kernelILi1024ELi512ELi2E21rocsparse_complex_numIdEEEvi21rocsparse_index_base_PKT2_PKiPiS4_
                                        ; -- End function
	.section	.AMDGPU.csdata,"",@progbits
; Kernel info:
; codeLenInByte = 1372
; NumSgprs: 24
; NumVgprs: 26
; NumAgprs: 0
; TotalNumVgprs: 26
; ScratchSize: 0
; MemoryBound: 0
; FloatMode: 240
; IeeeMode: 1
; LDSByteSize: 0 bytes/workgroup (compile time only)
; SGPRBlocks: 2
; VGPRBlocks: 3
; NumSGPRsForWavesPerEU: 24
; NumVGPRsForWavesPerEU: 26
; AccumOffset: 28
; Occupancy: 8
; WaveLimiterHint : 0
; COMPUTE_PGM_RSRC2:SCRATCH_EN: 0
; COMPUTE_PGM_RSRC2:USER_SGPR: 6
; COMPUTE_PGM_RSRC2:TRAP_HANDLER: 0
; COMPUTE_PGM_RSRC2:TGID_X_EN: 1
; COMPUTE_PGM_RSRC2:TGID_Y_EN: 0
; COMPUTE_PGM_RSRC2:TGID_Z_EN: 0
; COMPUTE_PGM_RSRC2:TIDIG_COMP_CNT: 0
; COMPUTE_PGM_RSRC3_GFX90A:ACCUM_OFFSET: 6
; COMPUTE_PGM_RSRC3_GFX90A:TG_SPLIT: 0
	.section	.text._ZN9rocsparseL19nnz_compress_kernelILi1024ELi256ELi4E21rocsparse_complex_numIdEEEvi21rocsparse_index_base_PKT2_PKiPiS4_,"axG",@progbits,_ZN9rocsparseL19nnz_compress_kernelILi1024ELi256ELi4E21rocsparse_complex_numIdEEEvi21rocsparse_index_base_PKT2_PKiPiS4_,comdat
	.globl	_ZN9rocsparseL19nnz_compress_kernelILi1024ELi256ELi4E21rocsparse_complex_numIdEEEvi21rocsparse_index_base_PKT2_PKiPiS4_ ; -- Begin function _ZN9rocsparseL19nnz_compress_kernelILi1024ELi256ELi4E21rocsparse_complex_numIdEEEvi21rocsparse_index_base_PKT2_PKiPiS4_
	.p2align	8
	.type	_ZN9rocsparseL19nnz_compress_kernelILi1024ELi256ELi4E21rocsparse_complex_numIdEEEvi21rocsparse_index_base_PKT2_PKiPiS4_,@function
_ZN9rocsparseL19nnz_compress_kernelILi1024ELi256ELi4E21rocsparse_complex_numIdEEEvi21rocsparse_index_base_PKT2_PKiPiS4_: ; @_ZN9rocsparseL19nnz_compress_kernelILi1024ELi256ELi4E21rocsparse_complex_numIdEEEvi21rocsparse_index_base_PKT2_PKiPiS4_
; %bb.0:
	s_load_dwordx2 s[8:9], s[4:5], 0x0
	v_lshrrev_b32_e32 v1, 2, v0
	v_lshl_or_b32 v2, s6, 8, v1
	s_waitcnt lgkmcnt(0)
	v_cmp_gt_i32_e32 vcc, s8, v2
	s_and_saveexec_b64 s[0:1], vcc
	s_cbranch_execz .LBB19_22
; %bb.1:
	s_load_dwordx4 s[0:3], s[4:5], 0x10
	v_ashrrev_i32_e32 v3, 31, v2
	v_lshlrev_b64 v[4:5], 2, v[2:3]
	v_and_b32_e32 v0, 3, v0
	v_subrev_u32_e32 v0, s9, v0
	s_waitcnt lgkmcnt(0)
	v_mov_b32_e32 v1, s1
	v_add_co_u32_e32 v2, vcc, s0, v4
	v_addc_co_u32_e32 v3, vcc, v1, v5, vcc
	global_load_dwordx2 v[2:3], v[2:3], off
	v_mov_b32_e32 v7, 0
	s_waitcnt vmcnt(0)
	v_subrev_u32_e32 v14, s9, v3
	v_add_u32_e32 v6, v2, v0
	v_cmp_lt_i32_e32 vcc, v6, v14
	s_and_saveexec_b64 s[6:7], vcc
	s_cbranch_execz .LBB19_21
; %bb.2:
	s_load_dwordx2 s[0:1], s[4:5], 0x8
	s_load_dwordx2 s[8:9], s[4:5], 0x20
	v_ashrrev_i32_e32 v7, 31, v6
	v_lshlrev_b64 v[0:1], 4, v[6:7]
	s_mov_b32 s10, 0
	s_waitcnt lgkmcnt(0)
	v_mov_b32_e32 v2, s1
	v_add_co_u32_e32 v0, vcc, s0, v0
	v_addc_co_u32_e32 v1, vcc, v1, v2, vcc
	v_add_co_u32_e32 v8, vcc, 8, v0
	s_mov_b32 s12, 0
	v_addc_co_u32_e32 v9, vcc, 0, v1, vcc
	s_mov_b64 s[4:5], 0
	v_mov_b32_e32 v7, 0
	s_brev_b32 s11, 8
	v_mov_b32_e32 v15, 0x260
	s_mov_b32 s13, 0x38100000
	v_mov_b32_e32 v16, 0xffffff80
	s_branch .LBB19_5
.LBB19_3:                               ;   in Loop: Header=BB19_5 Depth=1
	s_or_b64 exec, exec, s[0:1]
.LBB19_4:                               ;   in Loop: Header=BB19_5 Depth=1
	s_or_b64 exec, exec, s[14:15]
	v_add_u32_e32 v6, 4, v6
	v_cmp_ge_i32_e32 vcc, v6, v14
	s_or_b64 s[4:5], vcc, s[4:5]
	v_add_co_u32_e32 v8, vcc, 64, v8
	v_addc_co_u32_e32 v9, vcc, 0, v9, vcc
	s_andn2_b64 exec, exec, s[4:5]
	s_cbranch_execz .LBB19_20
.LBB19_5:                               ; =>This Inner Loop Header: Depth=1
	global_load_dwordx4 v[0:3], v[8:9], off offset:-8
                                        ; implicit-def: $vgpr12_vgpr13
	s_waitcnt vmcnt(0)
	v_xor_b32_e32 v10, 0x80000000, v1
	v_cmp_gt_f64_e32 vcc, 0, v[0:1]
	v_xor_b32_e32 v11, 0x80000000, v3
	v_cndmask_b32_e32 v1, v1, v10, vcc
	v_cmp_gt_f64_e32 vcc, 0, v[2:3]
	v_cndmask_b32_e32 v11, v3, v11, vcc
	v_mov_b32_e32 v10, v2
	v_cmp_ngt_f64_e64 s[0:1], v[0:1], v[10:11]
	s_and_saveexec_b64 s[14:15], s[0:1]
	s_xor_b64 s[14:15], exec, s[14:15]
	s_cbranch_execnz .LBB19_8
; %bb.6:                                ;   in Loop: Header=BB19_5 Depth=1
	s_andn2_saveexec_b64 s[14:15], s[14:15]
	s_cbranch_execnz .LBB19_11
.LBB19_7:                               ;   in Loop: Header=BB19_5 Depth=1
	s_or_b64 exec, exec, s[14:15]
	v_cmp_lt_f64_e32 vcc, s[8:9], v[12:13]
	s_and_saveexec_b64 s[14:15], vcc
	s_cbranch_execz .LBB19_4
	s_branch .LBB19_12
.LBB19_8:                               ;   in Loop: Header=BB19_5 Depth=1
	v_cmp_neq_f64_e32 vcc, 0, v[2:3]
	v_pk_mov_b32 v[12:13], 0, 0
	s_and_saveexec_b64 s[16:17], vcc
	s_cbranch_execz .LBB19_10
; %bb.9:                                ;   in Loop: Header=BB19_5 Depth=1
	v_div_scale_f64 v[12:13], s[18:19], v[10:11], v[10:11], v[0:1]
	v_rcp_f64_e32 v[18:19], v[12:13]
	v_div_scale_f64 v[20:21], vcc, v[0:1], v[10:11], v[0:1]
	v_fma_f64 v[22:23], -v[12:13], v[18:19], 1.0
	v_fmac_f64_e32 v[18:19], v[18:19], v[22:23]
	v_fma_f64 v[22:23], -v[12:13], v[18:19], 1.0
	v_fmac_f64_e32 v[18:19], v[18:19], v[22:23]
	v_mul_f64 v[22:23], v[20:21], v[18:19]
	v_fma_f64 v[12:13], -v[12:13], v[22:23], v[20:21]
	v_div_fmas_f64 v[12:13], v[12:13], v[18:19], v[22:23]
	v_div_fixup_f64 v[12:13], v[12:13], v[10:11], v[0:1]
	v_fma_f64 v[12:13], v[12:13], v[12:13], 1.0
	v_cmp_gt_f64_e32 vcc, s[10:11], v[12:13]
	v_cndmask_b32_e64 v17, 0, 1, vcc
	v_lshlrev_b32_e32 v17, 8, v17
	v_ldexp_f64 v[12:13], v[12:13], v17
	v_rsq_f64_e32 v[18:19], v[12:13]
	v_cndmask_b32_e32 v17, 0, v16, vcc
	v_cmp_class_f64_e32 vcc, v[12:13], v15
	v_mul_f64 v[20:21], v[12:13], v[18:19]
	v_mul_f64 v[18:19], v[18:19], 0.5
	v_fma_f64 v[22:23], -v[18:19], v[20:21], 0.5
	v_fmac_f64_e32 v[20:21], v[20:21], v[22:23]
	v_fma_f64 v[24:25], -v[20:21], v[20:21], v[12:13]
	v_fmac_f64_e32 v[18:19], v[18:19], v[22:23]
	v_fmac_f64_e32 v[20:21], v[24:25], v[18:19]
	v_fma_f64 v[22:23], -v[20:21], v[20:21], v[12:13]
	v_fmac_f64_e32 v[20:21], v[22:23], v[18:19]
	v_ldexp_f64 v[18:19], v[20:21], v17
	v_cndmask_b32_e32 v13, v19, v13, vcc
	v_cndmask_b32_e32 v12, v18, v12, vcc
	v_mul_f64 v[12:13], v[10:11], v[12:13]
.LBB19_10:                              ;   in Loop: Header=BB19_5 Depth=1
	s_or_b64 exec, exec, s[16:17]
	s_andn2_saveexec_b64 s[14:15], s[14:15]
	s_cbranch_execz .LBB19_7
.LBB19_11:                              ;   in Loop: Header=BB19_5 Depth=1
	v_div_scale_f64 v[12:13], s[16:17], v[0:1], v[0:1], v[10:11]
	v_rcp_f64_e32 v[18:19], v[12:13]
	v_div_scale_f64 v[20:21], vcc, v[10:11], v[0:1], v[10:11]
	v_fma_f64 v[22:23], -v[12:13], v[18:19], 1.0
	v_fmac_f64_e32 v[18:19], v[18:19], v[22:23]
	v_fma_f64 v[22:23], -v[12:13], v[18:19], 1.0
	v_fmac_f64_e32 v[18:19], v[18:19], v[22:23]
	v_mul_f64 v[22:23], v[20:21], v[18:19]
	v_fma_f64 v[12:13], -v[12:13], v[22:23], v[20:21]
	v_div_fmas_f64 v[12:13], v[12:13], v[18:19], v[22:23]
	v_div_fixup_f64 v[12:13], v[12:13], v[0:1], v[10:11]
	v_fma_f64 v[12:13], v[12:13], v[12:13], 1.0
	v_cmp_gt_f64_e32 vcc, s[10:11], v[12:13]
	v_cndmask_b32_e64 v17, 0, 1, vcc
	v_lshlrev_b32_e32 v17, 8, v17
	v_ldexp_f64 v[12:13], v[12:13], v17
	v_rsq_f64_e32 v[18:19], v[12:13]
	v_cndmask_b32_e32 v17, 0, v16, vcc
	v_cmp_class_f64_e32 vcc, v[12:13], v15
	v_mul_f64 v[20:21], v[12:13], v[18:19]
	v_mul_f64 v[18:19], v[18:19], 0.5
	v_fma_f64 v[22:23], -v[18:19], v[20:21], 0.5
	v_fmac_f64_e32 v[20:21], v[20:21], v[22:23]
	v_fma_f64 v[24:25], -v[20:21], v[20:21], v[12:13]
	v_fmac_f64_e32 v[18:19], v[18:19], v[22:23]
	v_fmac_f64_e32 v[20:21], v[24:25], v[18:19]
	v_fma_f64 v[22:23], -v[20:21], v[20:21], v[12:13]
	v_fmac_f64_e32 v[20:21], v[22:23], v[18:19]
	v_ldexp_f64 v[18:19], v[20:21], v17
	v_cndmask_b32_e32 v13, v19, v13, vcc
	v_cndmask_b32_e32 v12, v18, v12, vcc
	v_mul_f64 v[12:13], v[0:1], v[12:13]
	s_or_b64 exec, exec, s[14:15]
	v_cmp_lt_f64_e32 vcc, s[8:9], v[12:13]
	s_and_saveexec_b64 s[14:15], vcc
	s_cbranch_execz .LBB19_4
.LBB19_12:                              ;   in Loop: Header=BB19_5 Depth=1
                                        ; implicit-def: $vgpr12_vgpr13
	s_and_saveexec_b64 s[16:17], s[0:1]
	s_xor_b64 s[0:1], exec, s[16:17]
	s_cbranch_execnz .LBB19_15
; %bb.13:                               ;   in Loop: Header=BB19_5 Depth=1
	s_andn2_saveexec_b64 s[0:1], s[0:1]
	s_cbranch_execnz .LBB19_18
.LBB19_14:                              ;   in Loop: Header=BB19_5 Depth=1
	s_or_b64 exec, exec, s[0:1]
	v_cmp_lt_f64_e32 vcc, s[12:13], v[12:13]
	s_and_saveexec_b64 s[0:1], vcc
	s_cbranch_execz .LBB19_3
	s_branch .LBB19_19
.LBB19_15:                              ;   in Loop: Header=BB19_5 Depth=1
	v_cmp_neq_f64_e32 vcc, 0, v[2:3]
	v_pk_mov_b32 v[12:13], 0, 0
	s_and_saveexec_b64 s[16:17], vcc
	s_cbranch_execz .LBB19_17
; %bb.16:                               ;   in Loop: Header=BB19_5 Depth=1
	v_div_scale_f64 v[2:3], s[18:19], v[10:11], v[10:11], v[0:1]
	v_rcp_f64_e32 v[12:13], v[2:3]
	v_div_scale_f64 v[18:19], vcc, v[0:1], v[10:11], v[0:1]
	v_fma_f64 v[20:21], -v[2:3], v[12:13], 1.0
	v_fmac_f64_e32 v[12:13], v[12:13], v[20:21]
	v_fma_f64 v[20:21], -v[2:3], v[12:13], 1.0
	v_fmac_f64_e32 v[12:13], v[12:13], v[20:21]
	v_mul_f64 v[20:21], v[18:19], v[12:13]
	v_fma_f64 v[2:3], -v[2:3], v[20:21], v[18:19]
	v_div_fmas_f64 v[2:3], v[2:3], v[12:13], v[20:21]
	v_div_fixup_f64 v[0:1], v[2:3], v[10:11], v[0:1]
	v_fma_f64 v[0:1], v[0:1], v[0:1], 1.0
	v_cmp_gt_f64_e32 vcc, s[10:11], v[0:1]
	v_cndmask_b32_e64 v2, 0, 1, vcc
	v_lshlrev_b32_e32 v2, 8, v2
	v_ldexp_f64 v[0:1], v[0:1], v2
	v_rsq_f64_e32 v[2:3], v[0:1]
	v_mul_f64 v[12:13], v[0:1], v[2:3]
	v_mul_f64 v[2:3], v[2:3], 0.5
	v_fma_f64 v[18:19], -v[2:3], v[12:13], 0.5
	v_fmac_f64_e32 v[12:13], v[12:13], v[18:19]
	v_fma_f64 v[20:21], -v[12:13], v[12:13], v[0:1]
	v_fmac_f64_e32 v[2:3], v[2:3], v[18:19]
	v_fmac_f64_e32 v[12:13], v[20:21], v[2:3]
	v_fma_f64 v[18:19], -v[12:13], v[12:13], v[0:1]
	v_fmac_f64_e32 v[12:13], v[18:19], v[2:3]
	v_cndmask_b32_e32 v2, 0, v16, vcc
	v_ldexp_f64 v[2:3], v[12:13], v2
	v_cmp_class_f64_e32 vcc, v[0:1], v15
	v_cndmask_b32_e32 v1, v3, v1, vcc
	v_cndmask_b32_e32 v0, v2, v0, vcc
	v_mul_f64 v[12:13], v[10:11], v[0:1]
.LBB19_17:                              ;   in Loop: Header=BB19_5 Depth=1
	s_or_b64 exec, exec, s[16:17]
                                        ; implicit-def: $vgpr0_vgpr1
                                        ; implicit-def: $vgpr10_vgpr11
	s_andn2_saveexec_b64 s[0:1], s[0:1]
	s_cbranch_execz .LBB19_14
.LBB19_18:                              ;   in Loop: Header=BB19_5 Depth=1
	v_div_scale_f64 v[2:3], s[16:17], v[0:1], v[0:1], v[10:11]
	v_rcp_f64_e32 v[12:13], v[2:3]
	v_div_scale_f64 v[18:19], vcc, v[10:11], v[0:1], v[10:11]
	v_fma_f64 v[20:21], -v[2:3], v[12:13], 1.0
	v_fmac_f64_e32 v[12:13], v[12:13], v[20:21]
	v_fma_f64 v[20:21], -v[2:3], v[12:13], 1.0
	v_fmac_f64_e32 v[12:13], v[12:13], v[20:21]
	v_mul_f64 v[20:21], v[18:19], v[12:13]
	v_fma_f64 v[2:3], -v[2:3], v[20:21], v[18:19]
	v_div_fmas_f64 v[2:3], v[2:3], v[12:13], v[20:21]
	v_div_fixup_f64 v[2:3], v[2:3], v[0:1], v[10:11]
	v_fma_f64 v[2:3], v[2:3], v[2:3], 1.0
	v_cmp_gt_f64_e32 vcc, s[10:11], v[2:3]
	v_cndmask_b32_e64 v10, 0, 1, vcc
	v_lshlrev_b32_e32 v10, 8, v10
	v_ldexp_f64 v[2:3], v[2:3], v10
	v_rsq_f64_e32 v[10:11], v[2:3]
	v_mul_f64 v[12:13], v[2:3], v[10:11]
	v_mul_f64 v[10:11], v[10:11], 0.5
	v_fma_f64 v[18:19], -v[10:11], v[12:13], 0.5
	v_fmac_f64_e32 v[12:13], v[12:13], v[18:19]
	v_fma_f64 v[20:21], -v[12:13], v[12:13], v[2:3]
	v_fmac_f64_e32 v[10:11], v[10:11], v[18:19]
	v_fmac_f64_e32 v[12:13], v[20:21], v[10:11]
	v_fma_f64 v[18:19], -v[12:13], v[12:13], v[2:3]
	v_fmac_f64_e32 v[12:13], v[18:19], v[10:11]
	v_cndmask_b32_e32 v10, 0, v16, vcc
	v_ldexp_f64 v[10:11], v[12:13], v10
	v_cmp_class_f64_e32 vcc, v[2:3], v15
	v_cndmask_b32_e32 v3, v11, v3, vcc
	v_cndmask_b32_e32 v2, v10, v2, vcc
	v_mul_f64 v[12:13], v[0:1], v[2:3]
	s_or_b64 exec, exec, s[0:1]
	v_cmp_lt_f64_e32 vcc, s[12:13], v[12:13]
	s_and_saveexec_b64 s[0:1], vcc
	s_cbranch_execz .LBB19_3
.LBB19_19:                              ;   in Loop: Header=BB19_5 Depth=1
	v_add_u32_e32 v7, 1, v7
	s_branch .LBB19_3
.LBB19_20:
	s_or_b64 exec, exec, s[4:5]
.LBB19_21:
	s_or_b64 exec, exec, s[6:7]
	v_mov_b32_dpp v0, v7 row_shr:1 row_mask:0xf bank_mask:0xf
	v_add_u32_e32 v0, v0, v7
	s_nop 1
	v_mov_b32_dpp v1, v0 row_shr:2 row_mask:0xf bank_mask:0xf
	v_add_u32_e32 v0, v0, v1
	v_mbcnt_lo_u32_b32 v1, -1, 0
	v_mbcnt_hi_u32_b32 v1, -1, v1
	v_lshl_or_b32 v1, v1, 2, 12
	ds_bpermute_b32 v2, v1, v0
	v_mov_b32_e32 v1, s3
	v_add_co_u32_e32 v0, vcc, s2, v4
	v_addc_co_u32_e32 v1, vcc, v1, v5, vcc
	s_waitcnt lgkmcnt(0)
	global_store_dword v[0:1], v2, off
.LBB19_22:
	s_endpgm
	.section	.rodata,"a",@progbits
	.p2align	6, 0x0
	.amdhsa_kernel _ZN9rocsparseL19nnz_compress_kernelILi1024ELi256ELi4E21rocsparse_complex_numIdEEEvi21rocsparse_index_base_PKT2_PKiPiS4_
		.amdhsa_group_segment_fixed_size 0
		.amdhsa_private_segment_fixed_size 0
		.amdhsa_kernarg_size 48
		.amdhsa_user_sgpr_count 6
		.amdhsa_user_sgpr_private_segment_buffer 1
		.amdhsa_user_sgpr_dispatch_ptr 0
		.amdhsa_user_sgpr_queue_ptr 0
		.amdhsa_user_sgpr_kernarg_segment_ptr 1
		.amdhsa_user_sgpr_dispatch_id 0
		.amdhsa_user_sgpr_flat_scratch_init 0
		.amdhsa_user_sgpr_kernarg_preload_length 0
		.amdhsa_user_sgpr_kernarg_preload_offset 0
		.amdhsa_user_sgpr_private_segment_size 0
		.amdhsa_uses_dynamic_stack 0
		.amdhsa_system_sgpr_private_segment_wavefront_offset 0
		.amdhsa_system_sgpr_workgroup_id_x 1
		.amdhsa_system_sgpr_workgroup_id_y 0
		.amdhsa_system_sgpr_workgroup_id_z 0
		.amdhsa_system_sgpr_workgroup_info 0
		.amdhsa_system_vgpr_workitem_id 0
		.amdhsa_next_free_vgpr 26
		.amdhsa_next_free_sgpr 20
		.amdhsa_accum_offset 28
		.amdhsa_reserve_vcc 1
		.amdhsa_reserve_flat_scratch 0
		.amdhsa_float_round_mode_32 0
		.amdhsa_float_round_mode_16_64 0
		.amdhsa_float_denorm_mode_32 3
		.amdhsa_float_denorm_mode_16_64 3
		.amdhsa_dx10_clamp 1
		.amdhsa_ieee_mode 1
		.amdhsa_fp16_overflow 0
		.amdhsa_tg_split 0
		.amdhsa_exception_fp_ieee_invalid_op 0
		.amdhsa_exception_fp_denorm_src 0
		.amdhsa_exception_fp_ieee_div_zero 0
		.amdhsa_exception_fp_ieee_overflow 0
		.amdhsa_exception_fp_ieee_underflow 0
		.amdhsa_exception_fp_ieee_inexact 0
		.amdhsa_exception_int_div_zero 0
	.end_amdhsa_kernel
	.section	.text._ZN9rocsparseL19nnz_compress_kernelILi1024ELi256ELi4E21rocsparse_complex_numIdEEEvi21rocsparse_index_base_PKT2_PKiPiS4_,"axG",@progbits,_ZN9rocsparseL19nnz_compress_kernelILi1024ELi256ELi4E21rocsparse_complex_numIdEEEvi21rocsparse_index_base_PKT2_PKiPiS4_,comdat
.Lfunc_end19:
	.size	_ZN9rocsparseL19nnz_compress_kernelILi1024ELi256ELi4E21rocsparse_complex_numIdEEEvi21rocsparse_index_base_PKT2_PKiPiS4_, .Lfunc_end19-_ZN9rocsparseL19nnz_compress_kernelILi1024ELi256ELi4E21rocsparse_complex_numIdEEEvi21rocsparse_index_base_PKT2_PKiPiS4_
                                        ; -- End function
	.section	.AMDGPU.csdata,"",@progbits
; Kernel info:
; codeLenInByte = 1388
; NumSgprs: 24
; NumVgprs: 26
; NumAgprs: 0
; TotalNumVgprs: 26
; ScratchSize: 0
; MemoryBound: 0
; FloatMode: 240
; IeeeMode: 1
; LDSByteSize: 0 bytes/workgroup (compile time only)
; SGPRBlocks: 2
; VGPRBlocks: 3
; NumSGPRsForWavesPerEU: 24
; NumVGPRsForWavesPerEU: 26
; AccumOffset: 28
; Occupancy: 8
; WaveLimiterHint : 0
; COMPUTE_PGM_RSRC2:SCRATCH_EN: 0
; COMPUTE_PGM_RSRC2:USER_SGPR: 6
; COMPUTE_PGM_RSRC2:TRAP_HANDLER: 0
; COMPUTE_PGM_RSRC2:TGID_X_EN: 1
; COMPUTE_PGM_RSRC2:TGID_Y_EN: 0
; COMPUTE_PGM_RSRC2:TGID_Z_EN: 0
; COMPUTE_PGM_RSRC2:TIDIG_COMP_CNT: 0
; COMPUTE_PGM_RSRC3_GFX90A:ACCUM_OFFSET: 6
; COMPUTE_PGM_RSRC3_GFX90A:TG_SPLIT: 0
	.section	.text._ZN9rocsparseL19nnz_compress_kernelILi1024ELi128ELi8E21rocsparse_complex_numIdEEEvi21rocsparse_index_base_PKT2_PKiPiS4_,"axG",@progbits,_ZN9rocsparseL19nnz_compress_kernelILi1024ELi128ELi8E21rocsparse_complex_numIdEEEvi21rocsparse_index_base_PKT2_PKiPiS4_,comdat
	.globl	_ZN9rocsparseL19nnz_compress_kernelILi1024ELi128ELi8E21rocsparse_complex_numIdEEEvi21rocsparse_index_base_PKT2_PKiPiS4_ ; -- Begin function _ZN9rocsparseL19nnz_compress_kernelILi1024ELi128ELi8E21rocsparse_complex_numIdEEEvi21rocsparse_index_base_PKT2_PKiPiS4_
	.p2align	8
	.type	_ZN9rocsparseL19nnz_compress_kernelILi1024ELi128ELi8E21rocsparse_complex_numIdEEEvi21rocsparse_index_base_PKT2_PKiPiS4_,@function
_ZN9rocsparseL19nnz_compress_kernelILi1024ELi128ELi8E21rocsparse_complex_numIdEEEvi21rocsparse_index_base_PKT2_PKiPiS4_: ; @_ZN9rocsparseL19nnz_compress_kernelILi1024ELi128ELi8E21rocsparse_complex_numIdEEEvi21rocsparse_index_base_PKT2_PKiPiS4_
; %bb.0:
	s_load_dwordx2 s[8:9], s[4:5], 0x0
	v_lshrrev_b32_e32 v1, 3, v0
	v_lshl_or_b32 v2, s6, 7, v1
	s_waitcnt lgkmcnt(0)
	v_cmp_gt_i32_e32 vcc, s8, v2
	s_and_saveexec_b64 s[0:1], vcc
	s_cbranch_execz .LBB20_22
; %bb.1:
	s_load_dwordx4 s[0:3], s[4:5], 0x10
	v_ashrrev_i32_e32 v3, 31, v2
	v_lshlrev_b64 v[4:5], 2, v[2:3]
	v_and_b32_e32 v0, 7, v0
	v_subrev_u32_e32 v0, s9, v0
	s_waitcnt lgkmcnt(0)
	v_mov_b32_e32 v1, s1
	v_add_co_u32_e32 v2, vcc, s0, v4
	v_addc_co_u32_e32 v3, vcc, v1, v5, vcc
	global_load_dwordx2 v[2:3], v[2:3], off
	v_mov_b32_e32 v7, 0
	s_waitcnt vmcnt(0)
	v_subrev_u32_e32 v14, s9, v3
	v_add_u32_e32 v6, v2, v0
	v_cmp_lt_i32_e32 vcc, v6, v14
	s_and_saveexec_b64 s[6:7], vcc
	s_cbranch_execz .LBB20_21
; %bb.2:
	s_load_dwordx2 s[0:1], s[4:5], 0x8
	s_load_dwordx2 s[8:9], s[4:5], 0x20
	v_ashrrev_i32_e32 v7, 31, v6
	v_lshlrev_b64 v[0:1], 4, v[6:7]
	s_mov_b32 s10, 0
	s_waitcnt lgkmcnt(0)
	v_mov_b32_e32 v2, s1
	v_add_co_u32_e32 v0, vcc, s0, v0
	v_addc_co_u32_e32 v1, vcc, v1, v2, vcc
	v_add_co_u32_e32 v8, vcc, 8, v0
	s_mov_b32 s12, 0
	v_addc_co_u32_e32 v9, vcc, 0, v1, vcc
	s_mov_b64 s[4:5], 0
	v_mov_b32_e32 v7, 0
	s_brev_b32 s11, 8
	v_mov_b32_e32 v15, 0x260
	s_mov_b32 s13, 0x38100000
	v_mov_b32_e32 v16, 0xffffff80
	s_branch .LBB20_5
.LBB20_3:                               ;   in Loop: Header=BB20_5 Depth=1
	s_or_b64 exec, exec, s[0:1]
.LBB20_4:                               ;   in Loop: Header=BB20_5 Depth=1
	s_or_b64 exec, exec, s[14:15]
	v_add_u32_e32 v6, 8, v6
	v_add_co_u32_e32 v8, vcc, 0x80, v8
	v_cmp_ge_i32_e64 s[0:1], v6, v14
	s_or_b64 s[4:5], s[0:1], s[4:5]
	v_addc_co_u32_e32 v9, vcc, 0, v9, vcc
	s_andn2_b64 exec, exec, s[4:5]
	s_cbranch_execz .LBB20_20
.LBB20_5:                               ; =>This Inner Loop Header: Depth=1
	global_load_dwordx4 v[0:3], v[8:9], off offset:-8
                                        ; implicit-def: $vgpr12_vgpr13
	s_waitcnt vmcnt(0)
	v_xor_b32_e32 v10, 0x80000000, v1
	v_cmp_gt_f64_e32 vcc, 0, v[0:1]
	v_xor_b32_e32 v11, 0x80000000, v3
	v_cndmask_b32_e32 v1, v1, v10, vcc
	v_cmp_gt_f64_e32 vcc, 0, v[2:3]
	v_cndmask_b32_e32 v11, v3, v11, vcc
	v_mov_b32_e32 v10, v2
	v_cmp_ngt_f64_e64 s[0:1], v[0:1], v[10:11]
	s_and_saveexec_b64 s[14:15], s[0:1]
	s_xor_b64 s[14:15], exec, s[14:15]
	s_cbranch_execnz .LBB20_8
; %bb.6:                                ;   in Loop: Header=BB20_5 Depth=1
	s_andn2_saveexec_b64 s[14:15], s[14:15]
	s_cbranch_execnz .LBB20_11
.LBB20_7:                               ;   in Loop: Header=BB20_5 Depth=1
	s_or_b64 exec, exec, s[14:15]
	v_cmp_lt_f64_e32 vcc, s[8:9], v[12:13]
	s_and_saveexec_b64 s[14:15], vcc
	s_cbranch_execz .LBB20_4
	s_branch .LBB20_12
.LBB20_8:                               ;   in Loop: Header=BB20_5 Depth=1
	v_cmp_neq_f64_e32 vcc, 0, v[2:3]
	v_pk_mov_b32 v[12:13], 0, 0
	s_and_saveexec_b64 s[16:17], vcc
	s_cbranch_execz .LBB20_10
; %bb.9:                                ;   in Loop: Header=BB20_5 Depth=1
	v_div_scale_f64 v[12:13], s[18:19], v[10:11], v[10:11], v[0:1]
	v_rcp_f64_e32 v[18:19], v[12:13]
	v_div_scale_f64 v[20:21], vcc, v[0:1], v[10:11], v[0:1]
	v_fma_f64 v[22:23], -v[12:13], v[18:19], 1.0
	v_fmac_f64_e32 v[18:19], v[18:19], v[22:23]
	v_fma_f64 v[22:23], -v[12:13], v[18:19], 1.0
	v_fmac_f64_e32 v[18:19], v[18:19], v[22:23]
	v_mul_f64 v[22:23], v[20:21], v[18:19]
	v_fma_f64 v[12:13], -v[12:13], v[22:23], v[20:21]
	v_div_fmas_f64 v[12:13], v[12:13], v[18:19], v[22:23]
	v_div_fixup_f64 v[12:13], v[12:13], v[10:11], v[0:1]
	v_fma_f64 v[12:13], v[12:13], v[12:13], 1.0
	v_cmp_gt_f64_e32 vcc, s[10:11], v[12:13]
	v_cndmask_b32_e64 v17, 0, 1, vcc
	v_lshlrev_b32_e32 v17, 8, v17
	v_ldexp_f64 v[12:13], v[12:13], v17
	v_rsq_f64_e32 v[18:19], v[12:13]
	v_cndmask_b32_e32 v17, 0, v16, vcc
	v_cmp_class_f64_e32 vcc, v[12:13], v15
	v_mul_f64 v[20:21], v[12:13], v[18:19]
	v_mul_f64 v[18:19], v[18:19], 0.5
	v_fma_f64 v[22:23], -v[18:19], v[20:21], 0.5
	v_fmac_f64_e32 v[20:21], v[20:21], v[22:23]
	v_fma_f64 v[24:25], -v[20:21], v[20:21], v[12:13]
	v_fmac_f64_e32 v[18:19], v[18:19], v[22:23]
	v_fmac_f64_e32 v[20:21], v[24:25], v[18:19]
	v_fma_f64 v[22:23], -v[20:21], v[20:21], v[12:13]
	v_fmac_f64_e32 v[20:21], v[22:23], v[18:19]
	v_ldexp_f64 v[18:19], v[20:21], v17
	v_cndmask_b32_e32 v13, v19, v13, vcc
	v_cndmask_b32_e32 v12, v18, v12, vcc
	v_mul_f64 v[12:13], v[10:11], v[12:13]
.LBB20_10:                              ;   in Loop: Header=BB20_5 Depth=1
	s_or_b64 exec, exec, s[16:17]
	s_andn2_saveexec_b64 s[14:15], s[14:15]
	s_cbranch_execz .LBB20_7
.LBB20_11:                              ;   in Loop: Header=BB20_5 Depth=1
	v_div_scale_f64 v[12:13], s[16:17], v[0:1], v[0:1], v[10:11]
	v_rcp_f64_e32 v[18:19], v[12:13]
	v_div_scale_f64 v[20:21], vcc, v[10:11], v[0:1], v[10:11]
	v_fma_f64 v[22:23], -v[12:13], v[18:19], 1.0
	v_fmac_f64_e32 v[18:19], v[18:19], v[22:23]
	v_fma_f64 v[22:23], -v[12:13], v[18:19], 1.0
	v_fmac_f64_e32 v[18:19], v[18:19], v[22:23]
	v_mul_f64 v[22:23], v[20:21], v[18:19]
	v_fma_f64 v[12:13], -v[12:13], v[22:23], v[20:21]
	v_div_fmas_f64 v[12:13], v[12:13], v[18:19], v[22:23]
	v_div_fixup_f64 v[12:13], v[12:13], v[0:1], v[10:11]
	v_fma_f64 v[12:13], v[12:13], v[12:13], 1.0
	v_cmp_gt_f64_e32 vcc, s[10:11], v[12:13]
	v_cndmask_b32_e64 v17, 0, 1, vcc
	v_lshlrev_b32_e32 v17, 8, v17
	v_ldexp_f64 v[12:13], v[12:13], v17
	v_rsq_f64_e32 v[18:19], v[12:13]
	v_cndmask_b32_e32 v17, 0, v16, vcc
	v_cmp_class_f64_e32 vcc, v[12:13], v15
	v_mul_f64 v[20:21], v[12:13], v[18:19]
	v_mul_f64 v[18:19], v[18:19], 0.5
	v_fma_f64 v[22:23], -v[18:19], v[20:21], 0.5
	v_fmac_f64_e32 v[20:21], v[20:21], v[22:23]
	v_fma_f64 v[24:25], -v[20:21], v[20:21], v[12:13]
	v_fmac_f64_e32 v[18:19], v[18:19], v[22:23]
	v_fmac_f64_e32 v[20:21], v[24:25], v[18:19]
	v_fma_f64 v[22:23], -v[20:21], v[20:21], v[12:13]
	v_fmac_f64_e32 v[20:21], v[22:23], v[18:19]
	v_ldexp_f64 v[18:19], v[20:21], v17
	v_cndmask_b32_e32 v13, v19, v13, vcc
	v_cndmask_b32_e32 v12, v18, v12, vcc
	v_mul_f64 v[12:13], v[0:1], v[12:13]
	s_or_b64 exec, exec, s[14:15]
	v_cmp_lt_f64_e32 vcc, s[8:9], v[12:13]
	s_and_saveexec_b64 s[14:15], vcc
	s_cbranch_execz .LBB20_4
.LBB20_12:                              ;   in Loop: Header=BB20_5 Depth=1
                                        ; implicit-def: $vgpr12_vgpr13
	s_and_saveexec_b64 s[16:17], s[0:1]
	s_xor_b64 s[0:1], exec, s[16:17]
	s_cbranch_execnz .LBB20_15
; %bb.13:                               ;   in Loop: Header=BB20_5 Depth=1
	s_andn2_saveexec_b64 s[0:1], s[0:1]
	s_cbranch_execnz .LBB20_18
.LBB20_14:                              ;   in Loop: Header=BB20_5 Depth=1
	s_or_b64 exec, exec, s[0:1]
	v_cmp_lt_f64_e32 vcc, s[12:13], v[12:13]
	s_and_saveexec_b64 s[0:1], vcc
	s_cbranch_execz .LBB20_3
	s_branch .LBB20_19
.LBB20_15:                              ;   in Loop: Header=BB20_5 Depth=1
	v_cmp_neq_f64_e32 vcc, 0, v[2:3]
	v_pk_mov_b32 v[12:13], 0, 0
	s_and_saveexec_b64 s[16:17], vcc
	s_cbranch_execz .LBB20_17
; %bb.16:                               ;   in Loop: Header=BB20_5 Depth=1
	v_div_scale_f64 v[2:3], s[18:19], v[10:11], v[10:11], v[0:1]
	v_rcp_f64_e32 v[12:13], v[2:3]
	v_div_scale_f64 v[18:19], vcc, v[0:1], v[10:11], v[0:1]
	v_fma_f64 v[20:21], -v[2:3], v[12:13], 1.0
	v_fmac_f64_e32 v[12:13], v[12:13], v[20:21]
	v_fma_f64 v[20:21], -v[2:3], v[12:13], 1.0
	v_fmac_f64_e32 v[12:13], v[12:13], v[20:21]
	v_mul_f64 v[20:21], v[18:19], v[12:13]
	v_fma_f64 v[2:3], -v[2:3], v[20:21], v[18:19]
	v_div_fmas_f64 v[2:3], v[2:3], v[12:13], v[20:21]
	v_div_fixup_f64 v[0:1], v[2:3], v[10:11], v[0:1]
	v_fma_f64 v[0:1], v[0:1], v[0:1], 1.0
	v_cmp_gt_f64_e32 vcc, s[10:11], v[0:1]
	v_cndmask_b32_e64 v2, 0, 1, vcc
	v_lshlrev_b32_e32 v2, 8, v2
	v_ldexp_f64 v[0:1], v[0:1], v2
	v_rsq_f64_e32 v[2:3], v[0:1]
	v_mul_f64 v[12:13], v[0:1], v[2:3]
	v_mul_f64 v[2:3], v[2:3], 0.5
	v_fma_f64 v[18:19], -v[2:3], v[12:13], 0.5
	v_fmac_f64_e32 v[12:13], v[12:13], v[18:19]
	v_fma_f64 v[20:21], -v[12:13], v[12:13], v[0:1]
	v_fmac_f64_e32 v[2:3], v[2:3], v[18:19]
	v_fmac_f64_e32 v[12:13], v[20:21], v[2:3]
	v_fma_f64 v[18:19], -v[12:13], v[12:13], v[0:1]
	v_fmac_f64_e32 v[12:13], v[18:19], v[2:3]
	v_cndmask_b32_e32 v2, 0, v16, vcc
	v_ldexp_f64 v[2:3], v[12:13], v2
	v_cmp_class_f64_e32 vcc, v[0:1], v15
	v_cndmask_b32_e32 v1, v3, v1, vcc
	v_cndmask_b32_e32 v0, v2, v0, vcc
	v_mul_f64 v[12:13], v[10:11], v[0:1]
.LBB20_17:                              ;   in Loop: Header=BB20_5 Depth=1
	s_or_b64 exec, exec, s[16:17]
                                        ; implicit-def: $vgpr0_vgpr1
                                        ; implicit-def: $vgpr10_vgpr11
	s_andn2_saveexec_b64 s[0:1], s[0:1]
	s_cbranch_execz .LBB20_14
.LBB20_18:                              ;   in Loop: Header=BB20_5 Depth=1
	v_div_scale_f64 v[2:3], s[16:17], v[0:1], v[0:1], v[10:11]
	v_rcp_f64_e32 v[12:13], v[2:3]
	v_div_scale_f64 v[18:19], vcc, v[10:11], v[0:1], v[10:11]
	v_fma_f64 v[20:21], -v[2:3], v[12:13], 1.0
	v_fmac_f64_e32 v[12:13], v[12:13], v[20:21]
	v_fma_f64 v[20:21], -v[2:3], v[12:13], 1.0
	v_fmac_f64_e32 v[12:13], v[12:13], v[20:21]
	v_mul_f64 v[20:21], v[18:19], v[12:13]
	v_fma_f64 v[2:3], -v[2:3], v[20:21], v[18:19]
	v_div_fmas_f64 v[2:3], v[2:3], v[12:13], v[20:21]
	v_div_fixup_f64 v[2:3], v[2:3], v[0:1], v[10:11]
	v_fma_f64 v[2:3], v[2:3], v[2:3], 1.0
	v_cmp_gt_f64_e32 vcc, s[10:11], v[2:3]
	v_cndmask_b32_e64 v10, 0, 1, vcc
	v_lshlrev_b32_e32 v10, 8, v10
	v_ldexp_f64 v[2:3], v[2:3], v10
	v_rsq_f64_e32 v[10:11], v[2:3]
	v_mul_f64 v[12:13], v[2:3], v[10:11]
	v_mul_f64 v[10:11], v[10:11], 0.5
	v_fma_f64 v[18:19], -v[10:11], v[12:13], 0.5
	v_fmac_f64_e32 v[12:13], v[12:13], v[18:19]
	v_fma_f64 v[20:21], -v[12:13], v[12:13], v[2:3]
	v_fmac_f64_e32 v[10:11], v[10:11], v[18:19]
	v_fmac_f64_e32 v[12:13], v[20:21], v[10:11]
	v_fma_f64 v[18:19], -v[12:13], v[12:13], v[2:3]
	v_fmac_f64_e32 v[12:13], v[18:19], v[10:11]
	v_cndmask_b32_e32 v10, 0, v16, vcc
	v_ldexp_f64 v[10:11], v[12:13], v10
	v_cmp_class_f64_e32 vcc, v[2:3], v15
	v_cndmask_b32_e32 v3, v11, v3, vcc
	v_cndmask_b32_e32 v2, v10, v2, vcc
	v_mul_f64 v[12:13], v[0:1], v[2:3]
	s_or_b64 exec, exec, s[0:1]
	v_cmp_lt_f64_e32 vcc, s[12:13], v[12:13]
	s_and_saveexec_b64 s[0:1], vcc
	s_cbranch_execz .LBB20_3
.LBB20_19:                              ;   in Loop: Header=BB20_5 Depth=1
	v_add_u32_e32 v7, 1, v7
	s_branch .LBB20_3
.LBB20_20:
	s_or_b64 exec, exec, s[4:5]
.LBB20_21:
	s_or_b64 exec, exec, s[6:7]
	v_mov_b32_dpp v0, v7 row_shr:1 row_mask:0xf bank_mask:0xf
	v_add_u32_e32 v0, v0, v7
	s_nop 1
	v_mov_b32_dpp v1, v0 row_shr:2 row_mask:0xf bank_mask:0xf
	v_add_u32_e32 v0, v0, v1
	s_nop 1
	v_mov_b32_dpp v1, v0 row_shr:4 row_mask:0xf bank_mask:0xe
	v_add_u32_e32 v0, v0, v1
	v_mbcnt_lo_u32_b32 v1, -1, 0
	v_mbcnt_hi_u32_b32 v1, -1, v1
	v_lshl_or_b32 v1, v1, 2, 28
	ds_bpermute_b32 v2, v1, v0
	v_mov_b32_e32 v1, s3
	v_add_co_u32_e32 v0, vcc, s2, v4
	v_addc_co_u32_e32 v1, vcc, v1, v5, vcc
	s_waitcnt lgkmcnt(0)
	global_store_dword v[0:1], v2, off
.LBB20_22:
	s_endpgm
	.section	.rodata,"a",@progbits
	.p2align	6, 0x0
	.amdhsa_kernel _ZN9rocsparseL19nnz_compress_kernelILi1024ELi128ELi8E21rocsparse_complex_numIdEEEvi21rocsparse_index_base_PKT2_PKiPiS4_
		.amdhsa_group_segment_fixed_size 0
		.amdhsa_private_segment_fixed_size 0
		.amdhsa_kernarg_size 48
		.amdhsa_user_sgpr_count 6
		.amdhsa_user_sgpr_private_segment_buffer 1
		.amdhsa_user_sgpr_dispatch_ptr 0
		.amdhsa_user_sgpr_queue_ptr 0
		.amdhsa_user_sgpr_kernarg_segment_ptr 1
		.amdhsa_user_sgpr_dispatch_id 0
		.amdhsa_user_sgpr_flat_scratch_init 0
		.amdhsa_user_sgpr_kernarg_preload_length 0
		.amdhsa_user_sgpr_kernarg_preload_offset 0
		.amdhsa_user_sgpr_private_segment_size 0
		.amdhsa_uses_dynamic_stack 0
		.amdhsa_system_sgpr_private_segment_wavefront_offset 0
		.amdhsa_system_sgpr_workgroup_id_x 1
		.amdhsa_system_sgpr_workgroup_id_y 0
		.amdhsa_system_sgpr_workgroup_id_z 0
		.amdhsa_system_sgpr_workgroup_info 0
		.amdhsa_system_vgpr_workitem_id 0
		.amdhsa_next_free_vgpr 26
		.amdhsa_next_free_sgpr 20
		.amdhsa_accum_offset 28
		.amdhsa_reserve_vcc 1
		.amdhsa_reserve_flat_scratch 0
		.amdhsa_float_round_mode_32 0
		.amdhsa_float_round_mode_16_64 0
		.amdhsa_float_denorm_mode_32 3
		.amdhsa_float_denorm_mode_16_64 3
		.amdhsa_dx10_clamp 1
		.amdhsa_ieee_mode 1
		.amdhsa_fp16_overflow 0
		.amdhsa_tg_split 0
		.amdhsa_exception_fp_ieee_invalid_op 0
		.amdhsa_exception_fp_denorm_src 0
		.amdhsa_exception_fp_ieee_div_zero 0
		.amdhsa_exception_fp_ieee_overflow 0
		.amdhsa_exception_fp_ieee_underflow 0
		.amdhsa_exception_fp_ieee_inexact 0
		.amdhsa_exception_int_div_zero 0
	.end_amdhsa_kernel
	.section	.text._ZN9rocsparseL19nnz_compress_kernelILi1024ELi128ELi8E21rocsparse_complex_numIdEEEvi21rocsparse_index_base_PKT2_PKiPiS4_,"axG",@progbits,_ZN9rocsparseL19nnz_compress_kernelILi1024ELi128ELi8E21rocsparse_complex_numIdEEEvi21rocsparse_index_base_PKT2_PKiPiS4_,comdat
.Lfunc_end20:
	.size	_ZN9rocsparseL19nnz_compress_kernelILi1024ELi128ELi8E21rocsparse_complex_numIdEEEvi21rocsparse_index_base_PKT2_PKiPiS4_, .Lfunc_end20-_ZN9rocsparseL19nnz_compress_kernelILi1024ELi128ELi8E21rocsparse_complex_numIdEEEvi21rocsparse_index_base_PKT2_PKiPiS4_
                                        ; -- End function
	.section	.AMDGPU.csdata,"",@progbits
; Kernel info:
; codeLenInByte = 1412
; NumSgprs: 24
; NumVgprs: 26
; NumAgprs: 0
; TotalNumVgprs: 26
; ScratchSize: 0
; MemoryBound: 0
; FloatMode: 240
; IeeeMode: 1
; LDSByteSize: 0 bytes/workgroup (compile time only)
; SGPRBlocks: 2
; VGPRBlocks: 3
; NumSGPRsForWavesPerEU: 24
; NumVGPRsForWavesPerEU: 26
; AccumOffset: 28
; Occupancy: 8
; WaveLimiterHint : 0
; COMPUTE_PGM_RSRC2:SCRATCH_EN: 0
; COMPUTE_PGM_RSRC2:USER_SGPR: 6
; COMPUTE_PGM_RSRC2:TRAP_HANDLER: 0
; COMPUTE_PGM_RSRC2:TGID_X_EN: 1
; COMPUTE_PGM_RSRC2:TGID_Y_EN: 0
; COMPUTE_PGM_RSRC2:TGID_Z_EN: 0
; COMPUTE_PGM_RSRC2:TIDIG_COMP_CNT: 0
; COMPUTE_PGM_RSRC3_GFX90A:ACCUM_OFFSET: 6
; COMPUTE_PGM_RSRC3_GFX90A:TG_SPLIT: 0
	.section	.text._ZN9rocsparseL19nnz_compress_kernelILi1024ELi64ELi16E21rocsparse_complex_numIdEEEvi21rocsparse_index_base_PKT2_PKiPiS4_,"axG",@progbits,_ZN9rocsparseL19nnz_compress_kernelILi1024ELi64ELi16E21rocsparse_complex_numIdEEEvi21rocsparse_index_base_PKT2_PKiPiS4_,comdat
	.globl	_ZN9rocsparseL19nnz_compress_kernelILi1024ELi64ELi16E21rocsparse_complex_numIdEEEvi21rocsparse_index_base_PKT2_PKiPiS4_ ; -- Begin function _ZN9rocsparseL19nnz_compress_kernelILi1024ELi64ELi16E21rocsparse_complex_numIdEEEvi21rocsparse_index_base_PKT2_PKiPiS4_
	.p2align	8
	.type	_ZN9rocsparseL19nnz_compress_kernelILi1024ELi64ELi16E21rocsparse_complex_numIdEEEvi21rocsparse_index_base_PKT2_PKiPiS4_,@function
_ZN9rocsparseL19nnz_compress_kernelILi1024ELi64ELi16E21rocsparse_complex_numIdEEEvi21rocsparse_index_base_PKT2_PKiPiS4_: ; @_ZN9rocsparseL19nnz_compress_kernelILi1024ELi64ELi16E21rocsparse_complex_numIdEEEvi21rocsparse_index_base_PKT2_PKiPiS4_
; %bb.0:
	s_load_dwordx2 s[8:9], s[4:5], 0x0
	v_lshrrev_b32_e32 v1, 4, v0
	v_lshl_or_b32 v2, s6, 6, v1
	s_waitcnt lgkmcnt(0)
	v_cmp_gt_i32_e32 vcc, s8, v2
	s_and_saveexec_b64 s[0:1], vcc
	s_cbranch_execz .LBB21_22
; %bb.1:
	s_load_dwordx4 s[0:3], s[4:5], 0x10
	v_ashrrev_i32_e32 v3, 31, v2
	v_lshlrev_b64 v[4:5], 2, v[2:3]
	v_and_b32_e32 v0, 15, v0
	v_subrev_u32_e32 v0, s9, v0
	s_waitcnt lgkmcnt(0)
	v_mov_b32_e32 v1, s1
	v_add_co_u32_e32 v2, vcc, s0, v4
	v_addc_co_u32_e32 v3, vcc, v1, v5, vcc
	global_load_dwordx2 v[2:3], v[2:3], off
	v_mov_b32_e32 v7, 0
	s_waitcnt vmcnt(0)
	v_subrev_u32_e32 v14, s9, v3
	v_add_u32_e32 v6, v2, v0
	v_cmp_lt_i32_e32 vcc, v6, v14
	s_and_saveexec_b64 s[6:7], vcc
	s_cbranch_execz .LBB21_21
; %bb.2:
	s_load_dwordx2 s[0:1], s[4:5], 0x8
	s_load_dwordx2 s[8:9], s[4:5], 0x20
	v_ashrrev_i32_e32 v7, 31, v6
	v_lshlrev_b64 v[0:1], 4, v[6:7]
	s_mov_b32 s10, 0
	s_waitcnt lgkmcnt(0)
	v_mov_b32_e32 v2, s1
	v_add_co_u32_e32 v0, vcc, s0, v0
	v_addc_co_u32_e32 v1, vcc, v1, v2, vcc
	v_add_co_u32_e32 v8, vcc, 8, v0
	s_mov_b32 s12, 0
	v_addc_co_u32_e32 v9, vcc, 0, v1, vcc
	s_mov_b64 s[4:5], 0
	v_mov_b32_e32 v7, 0
	s_brev_b32 s11, 8
	v_mov_b32_e32 v15, 0x260
	s_mov_b32 s13, 0x38100000
	v_mov_b32_e32 v16, 0xffffff80
	s_branch .LBB21_5
.LBB21_3:                               ;   in Loop: Header=BB21_5 Depth=1
	s_or_b64 exec, exec, s[0:1]
.LBB21_4:                               ;   in Loop: Header=BB21_5 Depth=1
	s_or_b64 exec, exec, s[14:15]
	v_add_u32_e32 v6, 16, v6
	v_add_co_u32_e32 v8, vcc, 0x100, v8
	v_cmp_ge_i32_e64 s[0:1], v6, v14
	s_or_b64 s[4:5], s[0:1], s[4:5]
	v_addc_co_u32_e32 v9, vcc, 0, v9, vcc
	s_andn2_b64 exec, exec, s[4:5]
	s_cbranch_execz .LBB21_20
.LBB21_5:                               ; =>This Inner Loop Header: Depth=1
	global_load_dwordx4 v[0:3], v[8:9], off offset:-8
                                        ; implicit-def: $vgpr12_vgpr13
	s_waitcnt vmcnt(0)
	v_xor_b32_e32 v10, 0x80000000, v1
	v_cmp_gt_f64_e32 vcc, 0, v[0:1]
	v_xor_b32_e32 v11, 0x80000000, v3
	v_cndmask_b32_e32 v1, v1, v10, vcc
	v_cmp_gt_f64_e32 vcc, 0, v[2:3]
	v_cndmask_b32_e32 v11, v3, v11, vcc
	v_mov_b32_e32 v10, v2
	v_cmp_ngt_f64_e64 s[0:1], v[0:1], v[10:11]
	s_and_saveexec_b64 s[14:15], s[0:1]
	s_xor_b64 s[14:15], exec, s[14:15]
	s_cbranch_execnz .LBB21_8
; %bb.6:                                ;   in Loop: Header=BB21_5 Depth=1
	s_andn2_saveexec_b64 s[14:15], s[14:15]
	s_cbranch_execnz .LBB21_11
.LBB21_7:                               ;   in Loop: Header=BB21_5 Depth=1
	s_or_b64 exec, exec, s[14:15]
	v_cmp_lt_f64_e32 vcc, s[8:9], v[12:13]
	s_and_saveexec_b64 s[14:15], vcc
	s_cbranch_execz .LBB21_4
	s_branch .LBB21_12
.LBB21_8:                               ;   in Loop: Header=BB21_5 Depth=1
	v_cmp_neq_f64_e32 vcc, 0, v[2:3]
	v_pk_mov_b32 v[12:13], 0, 0
	s_and_saveexec_b64 s[16:17], vcc
	s_cbranch_execz .LBB21_10
; %bb.9:                                ;   in Loop: Header=BB21_5 Depth=1
	v_div_scale_f64 v[12:13], s[18:19], v[10:11], v[10:11], v[0:1]
	v_rcp_f64_e32 v[18:19], v[12:13]
	v_div_scale_f64 v[20:21], vcc, v[0:1], v[10:11], v[0:1]
	v_fma_f64 v[22:23], -v[12:13], v[18:19], 1.0
	v_fmac_f64_e32 v[18:19], v[18:19], v[22:23]
	v_fma_f64 v[22:23], -v[12:13], v[18:19], 1.0
	v_fmac_f64_e32 v[18:19], v[18:19], v[22:23]
	v_mul_f64 v[22:23], v[20:21], v[18:19]
	v_fma_f64 v[12:13], -v[12:13], v[22:23], v[20:21]
	v_div_fmas_f64 v[12:13], v[12:13], v[18:19], v[22:23]
	v_div_fixup_f64 v[12:13], v[12:13], v[10:11], v[0:1]
	v_fma_f64 v[12:13], v[12:13], v[12:13], 1.0
	v_cmp_gt_f64_e32 vcc, s[10:11], v[12:13]
	v_cndmask_b32_e64 v17, 0, 1, vcc
	v_lshlrev_b32_e32 v17, 8, v17
	v_ldexp_f64 v[12:13], v[12:13], v17
	v_rsq_f64_e32 v[18:19], v[12:13]
	v_cndmask_b32_e32 v17, 0, v16, vcc
	v_cmp_class_f64_e32 vcc, v[12:13], v15
	v_mul_f64 v[20:21], v[12:13], v[18:19]
	v_mul_f64 v[18:19], v[18:19], 0.5
	v_fma_f64 v[22:23], -v[18:19], v[20:21], 0.5
	v_fmac_f64_e32 v[20:21], v[20:21], v[22:23]
	v_fma_f64 v[24:25], -v[20:21], v[20:21], v[12:13]
	v_fmac_f64_e32 v[18:19], v[18:19], v[22:23]
	v_fmac_f64_e32 v[20:21], v[24:25], v[18:19]
	v_fma_f64 v[22:23], -v[20:21], v[20:21], v[12:13]
	v_fmac_f64_e32 v[20:21], v[22:23], v[18:19]
	v_ldexp_f64 v[18:19], v[20:21], v17
	v_cndmask_b32_e32 v13, v19, v13, vcc
	v_cndmask_b32_e32 v12, v18, v12, vcc
	v_mul_f64 v[12:13], v[10:11], v[12:13]
.LBB21_10:                              ;   in Loop: Header=BB21_5 Depth=1
	s_or_b64 exec, exec, s[16:17]
	s_andn2_saveexec_b64 s[14:15], s[14:15]
	s_cbranch_execz .LBB21_7
.LBB21_11:                              ;   in Loop: Header=BB21_5 Depth=1
	v_div_scale_f64 v[12:13], s[16:17], v[0:1], v[0:1], v[10:11]
	v_rcp_f64_e32 v[18:19], v[12:13]
	v_div_scale_f64 v[20:21], vcc, v[10:11], v[0:1], v[10:11]
	v_fma_f64 v[22:23], -v[12:13], v[18:19], 1.0
	v_fmac_f64_e32 v[18:19], v[18:19], v[22:23]
	v_fma_f64 v[22:23], -v[12:13], v[18:19], 1.0
	v_fmac_f64_e32 v[18:19], v[18:19], v[22:23]
	v_mul_f64 v[22:23], v[20:21], v[18:19]
	v_fma_f64 v[12:13], -v[12:13], v[22:23], v[20:21]
	v_div_fmas_f64 v[12:13], v[12:13], v[18:19], v[22:23]
	v_div_fixup_f64 v[12:13], v[12:13], v[0:1], v[10:11]
	v_fma_f64 v[12:13], v[12:13], v[12:13], 1.0
	v_cmp_gt_f64_e32 vcc, s[10:11], v[12:13]
	v_cndmask_b32_e64 v17, 0, 1, vcc
	v_lshlrev_b32_e32 v17, 8, v17
	v_ldexp_f64 v[12:13], v[12:13], v17
	v_rsq_f64_e32 v[18:19], v[12:13]
	v_cndmask_b32_e32 v17, 0, v16, vcc
	v_cmp_class_f64_e32 vcc, v[12:13], v15
	v_mul_f64 v[20:21], v[12:13], v[18:19]
	v_mul_f64 v[18:19], v[18:19], 0.5
	v_fma_f64 v[22:23], -v[18:19], v[20:21], 0.5
	v_fmac_f64_e32 v[20:21], v[20:21], v[22:23]
	v_fma_f64 v[24:25], -v[20:21], v[20:21], v[12:13]
	v_fmac_f64_e32 v[18:19], v[18:19], v[22:23]
	v_fmac_f64_e32 v[20:21], v[24:25], v[18:19]
	v_fma_f64 v[22:23], -v[20:21], v[20:21], v[12:13]
	v_fmac_f64_e32 v[20:21], v[22:23], v[18:19]
	v_ldexp_f64 v[18:19], v[20:21], v17
	v_cndmask_b32_e32 v13, v19, v13, vcc
	v_cndmask_b32_e32 v12, v18, v12, vcc
	v_mul_f64 v[12:13], v[0:1], v[12:13]
	s_or_b64 exec, exec, s[14:15]
	v_cmp_lt_f64_e32 vcc, s[8:9], v[12:13]
	s_and_saveexec_b64 s[14:15], vcc
	s_cbranch_execz .LBB21_4
.LBB21_12:                              ;   in Loop: Header=BB21_5 Depth=1
                                        ; implicit-def: $vgpr12_vgpr13
	s_and_saveexec_b64 s[16:17], s[0:1]
	s_xor_b64 s[0:1], exec, s[16:17]
	s_cbranch_execnz .LBB21_15
; %bb.13:                               ;   in Loop: Header=BB21_5 Depth=1
	s_andn2_saveexec_b64 s[0:1], s[0:1]
	s_cbranch_execnz .LBB21_18
.LBB21_14:                              ;   in Loop: Header=BB21_5 Depth=1
	s_or_b64 exec, exec, s[0:1]
	v_cmp_lt_f64_e32 vcc, s[12:13], v[12:13]
	s_and_saveexec_b64 s[0:1], vcc
	s_cbranch_execz .LBB21_3
	s_branch .LBB21_19
.LBB21_15:                              ;   in Loop: Header=BB21_5 Depth=1
	v_cmp_neq_f64_e32 vcc, 0, v[2:3]
	v_pk_mov_b32 v[12:13], 0, 0
	s_and_saveexec_b64 s[16:17], vcc
	s_cbranch_execz .LBB21_17
; %bb.16:                               ;   in Loop: Header=BB21_5 Depth=1
	v_div_scale_f64 v[2:3], s[18:19], v[10:11], v[10:11], v[0:1]
	v_rcp_f64_e32 v[12:13], v[2:3]
	v_div_scale_f64 v[18:19], vcc, v[0:1], v[10:11], v[0:1]
	v_fma_f64 v[20:21], -v[2:3], v[12:13], 1.0
	v_fmac_f64_e32 v[12:13], v[12:13], v[20:21]
	v_fma_f64 v[20:21], -v[2:3], v[12:13], 1.0
	v_fmac_f64_e32 v[12:13], v[12:13], v[20:21]
	v_mul_f64 v[20:21], v[18:19], v[12:13]
	v_fma_f64 v[2:3], -v[2:3], v[20:21], v[18:19]
	v_div_fmas_f64 v[2:3], v[2:3], v[12:13], v[20:21]
	v_div_fixup_f64 v[0:1], v[2:3], v[10:11], v[0:1]
	v_fma_f64 v[0:1], v[0:1], v[0:1], 1.0
	v_cmp_gt_f64_e32 vcc, s[10:11], v[0:1]
	v_cndmask_b32_e64 v2, 0, 1, vcc
	v_lshlrev_b32_e32 v2, 8, v2
	v_ldexp_f64 v[0:1], v[0:1], v2
	v_rsq_f64_e32 v[2:3], v[0:1]
	v_mul_f64 v[12:13], v[0:1], v[2:3]
	v_mul_f64 v[2:3], v[2:3], 0.5
	v_fma_f64 v[18:19], -v[2:3], v[12:13], 0.5
	v_fmac_f64_e32 v[12:13], v[12:13], v[18:19]
	v_fma_f64 v[20:21], -v[12:13], v[12:13], v[0:1]
	v_fmac_f64_e32 v[2:3], v[2:3], v[18:19]
	v_fmac_f64_e32 v[12:13], v[20:21], v[2:3]
	v_fma_f64 v[18:19], -v[12:13], v[12:13], v[0:1]
	v_fmac_f64_e32 v[12:13], v[18:19], v[2:3]
	v_cndmask_b32_e32 v2, 0, v16, vcc
	v_ldexp_f64 v[2:3], v[12:13], v2
	v_cmp_class_f64_e32 vcc, v[0:1], v15
	v_cndmask_b32_e32 v1, v3, v1, vcc
	v_cndmask_b32_e32 v0, v2, v0, vcc
	v_mul_f64 v[12:13], v[10:11], v[0:1]
.LBB21_17:                              ;   in Loop: Header=BB21_5 Depth=1
	s_or_b64 exec, exec, s[16:17]
                                        ; implicit-def: $vgpr0_vgpr1
                                        ; implicit-def: $vgpr10_vgpr11
	s_andn2_saveexec_b64 s[0:1], s[0:1]
	s_cbranch_execz .LBB21_14
.LBB21_18:                              ;   in Loop: Header=BB21_5 Depth=1
	v_div_scale_f64 v[2:3], s[16:17], v[0:1], v[0:1], v[10:11]
	v_rcp_f64_e32 v[12:13], v[2:3]
	v_div_scale_f64 v[18:19], vcc, v[10:11], v[0:1], v[10:11]
	v_fma_f64 v[20:21], -v[2:3], v[12:13], 1.0
	v_fmac_f64_e32 v[12:13], v[12:13], v[20:21]
	v_fma_f64 v[20:21], -v[2:3], v[12:13], 1.0
	v_fmac_f64_e32 v[12:13], v[12:13], v[20:21]
	v_mul_f64 v[20:21], v[18:19], v[12:13]
	v_fma_f64 v[2:3], -v[2:3], v[20:21], v[18:19]
	v_div_fmas_f64 v[2:3], v[2:3], v[12:13], v[20:21]
	v_div_fixup_f64 v[2:3], v[2:3], v[0:1], v[10:11]
	v_fma_f64 v[2:3], v[2:3], v[2:3], 1.0
	v_cmp_gt_f64_e32 vcc, s[10:11], v[2:3]
	v_cndmask_b32_e64 v10, 0, 1, vcc
	v_lshlrev_b32_e32 v10, 8, v10
	v_ldexp_f64 v[2:3], v[2:3], v10
	v_rsq_f64_e32 v[10:11], v[2:3]
	v_mul_f64 v[12:13], v[2:3], v[10:11]
	v_mul_f64 v[10:11], v[10:11], 0.5
	v_fma_f64 v[18:19], -v[10:11], v[12:13], 0.5
	v_fmac_f64_e32 v[12:13], v[12:13], v[18:19]
	v_fma_f64 v[20:21], -v[12:13], v[12:13], v[2:3]
	v_fmac_f64_e32 v[10:11], v[10:11], v[18:19]
	v_fmac_f64_e32 v[12:13], v[20:21], v[10:11]
	v_fma_f64 v[18:19], -v[12:13], v[12:13], v[2:3]
	v_fmac_f64_e32 v[12:13], v[18:19], v[10:11]
	v_cndmask_b32_e32 v10, 0, v16, vcc
	v_ldexp_f64 v[10:11], v[12:13], v10
	v_cmp_class_f64_e32 vcc, v[2:3], v15
	v_cndmask_b32_e32 v3, v11, v3, vcc
	v_cndmask_b32_e32 v2, v10, v2, vcc
	v_mul_f64 v[12:13], v[0:1], v[2:3]
	s_or_b64 exec, exec, s[0:1]
	v_cmp_lt_f64_e32 vcc, s[12:13], v[12:13]
	s_and_saveexec_b64 s[0:1], vcc
	s_cbranch_execz .LBB21_3
.LBB21_19:                              ;   in Loop: Header=BB21_5 Depth=1
	v_add_u32_e32 v7, 1, v7
	s_branch .LBB21_3
.LBB21_20:
	s_or_b64 exec, exec, s[4:5]
.LBB21_21:
	s_or_b64 exec, exec, s[6:7]
	v_mov_b32_dpp v0, v7 row_shr:1 row_mask:0xf bank_mask:0xf
	v_add_u32_e32 v0, v0, v7
	s_nop 1
	v_mov_b32_dpp v1, v0 row_shr:2 row_mask:0xf bank_mask:0xf
	v_add_u32_e32 v0, v0, v1
	s_nop 1
	;; [unrolled: 3-line block ×3, first 2 shown]
	v_mov_b32_dpp v1, v0 row_shr:8 row_mask:0xf bank_mask:0xc
	v_add_u32_e32 v0, v0, v1
	v_mbcnt_lo_u32_b32 v1, -1, 0
	v_mbcnt_hi_u32_b32 v1, -1, v1
	v_lshl_or_b32 v1, v1, 2, 60
	ds_bpermute_b32 v2, v1, v0
	v_mov_b32_e32 v1, s3
	v_add_co_u32_e32 v0, vcc, s2, v4
	v_addc_co_u32_e32 v1, vcc, v1, v5, vcc
	s_waitcnt lgkmcnt(0)
	global_store_dword v[0:1], v2, off
.LBB21_22:
	s_endpgm
	.section	.rodata,"a",@progbits
	.p2align	6, 0x0
	.amdhsa_kernel _ZN9rocsparseL19nnz_compress_kernelILi1024ELi64ELi16E21rocsparse_complex_numIdEEEvi21rocsparse_index_base_PKT2_PKiPiS4_
		.amdhsa_group_segment_fixed_size 0
		.amdhsa_private_segment_fixed_size 0
		.amdhsa_kernarg_size 48
		.amdhsa_user_sgpr_count 6
		.amdhsa_user_sgpr_private_segment_buffer 1
		.amdhsa_user_sgpr_dispatch_ptr 0
		.amdhsa_user_sgpr_queue_ptr 0
		.amdhsa_user_sgpr_kernarg_segment_ptr 1
		.amdhsa_user_sgpr_dispatch_id 0
		.amdhsa_user_sgpr_flat_scratch_init 0
		.amdhsa_user_sgpr_kernarg_preload_length 0
		.amdhsa_user_sgpr_kernarg_preload_offset 0
		.amdhsa_user_sgpr_private_segment_size 0
		.amdhsa_uses_dynamic_stack 0
		.amdhsa_system_sgpr_private_segment_wavefront_offset 0
		.amdhsa_system_sgpr_workgroup_id_x 1
		.amdhsa_system_sgpr_workgroup_id_y 0
		.amdhsa_system_sgpr_workgroup_id_z 0
		.amdhsa_system_sgpr_workgroup_info 0
		.amdhsa_system_vgpr_workitem_id 0
		.amdhsa_next_free_vgpr 26
		.amdhsa_next_free_sgpr 20
		.amdhsa_accum_offset 28
		.amdhsa_reserve_vcc 1
		.amdhsa_reserve_flat_scratch 0
		.amdhsa_float_round_mode_32 0
		.amdhsa_float_round_mode_16_64 0
		.amdhsa_float_denorm_mode_32 3
		.amdhsa_float_denorm_mode_16_64 3
		.amdhsa_dx10_clamp 1
		.amdhsa_ieee_mode 1
		.amdhsa_fp16_overflow 0
		.amdhsa_tg_split 0
		.amdhsa_exception_fp_ieee_invalid_op 0
		.amdhsa_exception_fp_denorm_src 0
		.amdhsa_exception_fp_ieee_div_zero 0
		.amdhsa_exception_fp_ieee_overflow 0
		.amdhsa_exception_fp_ieee_underflow 0
		.amdhsa_exception_fp_ieee_inexact 0
		.amdhsa_exception_int_div_zero 0
	.end_amdhsa_kernel
	.section	.text._ZN9rocsparseL19nnz_compress_kernelILi1024ELi64ELi16E21rocsparse_complex_numIdEEEvi21rocsparse_index_base_PKT2_PKiPiS4_,"axG",@progbits,_ZN9rocsparseL19nnz_compress_kernelILi1024ELi64ELi16E21rocsparse_complex_numIdEEEvi21rocsparse_index_base_PKT2_PKiPiS4_,comdat
.Lfunc_end21:
	.size	_ZN9rocsparseL19nnz_compress_kernelILi1024ELi64ELi16E21rocsparse_complex_numIdEEEvi21rocsparse_index_base_PKT2_PKiPiS4_, .Lfunc_end21-_ZN9rocsparseL19nnz_compress_kernelILi1024ELi64ELi16E21rocsparse_complex_numIdEEEvi21rocsparse_index_base_PKT2_PKiPiS4_
                                        ; -- End function
	.section	.AMDGPU.csdata,"",@progbits
; Kernel info:
; codeLenInByte = 1428
; NumSgprs: 24
; NumVgprs: 26
; NumAgprs: 0
; TotalNumVgprs: 26
; ScratchSize: 0
; MemoryBound: 0
; FloatMode: 240
; IeeeMode: 1
; LDSByteSize: 0 bytes/workgroup (compile time only)
; SGPRBlocks: 2
; VGPRBlocks: 3
; NumSGPRsForWavesPerEU: 24
; NumVGPRsForWavesPerEU: 26
; AccumOffset: 28
; Occupancy: 8
; WaveLimiterHint : 0
; COMPUTE_PGM_RSRC2:SCRATCH_EN: 0
; COMPUTE_PGM_RSRC2:USER_SGPR: 6
; COMPUTE_PGM_RSRC2:TRAP_HANDLER: 0
; COMPUTE_PGM_RSRC2:TGID_X_EN: 1
; COMPUTE_PGM_RSRC2:TGID_Y_EN: 0
; COMPUTE_PGM_RSRC2:TGID_Z_EN: 0
; COMPUTE_PGM_RSRC2:TIDIG_COMP_CNT: 0
; COMPUTE_PGM_RSRC3_GFX90A:ACCUM_OFFSET: 6
; COMPUTE_PGM_RSRC3_GFX90A:TG_SPLIT: 0
	.section	.text._ZN9rocsparseL19nnz_compress_kernelILi1024ELi32ELi32E21rocsparse_complex_numIdEEEvi21rocsparse_index_base_PKT2_PKiPiS4_,"axG",@progbits,_ZN9rocsparseL19nnz_compress_kernelILi1024ELi32ELi32E21rocsparse_complex_numIdEEEvi21rocsparse_index_base_PKT2_PKiPiS4_,comdat
	.globl	_ZN9rocsparseL19nnz_compress_kernelILi1024ELi32ELi32E21rocsparse_complex_numIdEEEvi21rocsparse_index_base_PKT2_PKiPiS4_ ; -- Begin function _ZN9rocsparseL19nnz_compress_kernelILi1024ELi32ELi32E21rocsparse_complex_numIdEEEvi21rocsparse_index_base_PKT2_PKiPiS4_
	.p2align	8
	.type	_ZN9rocsparseL19nnz_compress_kernelILi1024ELi32ELi32E21rocsparse_complex_numIdEEEvi21rocsparse_index_base_PKT2_PKiPiS4_,@function
_ZN9rocsparseL19nnz_compress_kernelILi1024ELi32ELi32E21rocsparse_complex_numIdEEEvi21rocsparse_index_base_PKT2_PKiPiS4_: ; @_ZN9rocsparseL19nnz_compress_kernelILi1024ELi32ELi32E21rocsparse_complex_numIdEEEvi21rocsparse_index_base_PKT2_PKiPiS4_
; %bb.0:
	s_load_dwordx2 s[8:9], s[4:5], 0x0
	v_lshrrev_b32_e32 v1, 5, v0
	v_lshl_or_b32 v2, s6, 5, v1
	s_waitcnt lgkmcnt(0)
	v_cmp_gt_i32_e32 vcc, s8, v2
	s_and_saveexec_b64 s[0:1], vcc
	s_cbranch_execz .LBB22_22
; %bb.1:
	s_load_dwordx4 s[0:3], s[4:5], 0x10
	v_ashrrev_i32_e32 v3, 31, v2
	v_lshlrev_b64 v[4:5], 2, v[2:3]
	v_and_b32_e32 v0, 31, v0
	v_subrev_u32_e32 v0, s9, v0
	s_waitcnt lgkmcnt(0)
	v_mov_b32_e32 v1, s1
	v_add_co_u32_e32 v2, vcc, s0, v4
	v_addc_co_u32_e32 v3, vcc, v1, v5, vcc
	global_load_dwordx2 v[2:3], v[2:3], off
	v_mov_b32_e32 v7, 0
	s_waitcnt vmcnt(0)
	v_subrev_u32_e32 v14, s9, v3
	v_add_u32_e32 v6, v2, v0
	v_cmp_lt_i32_e32 vcc, v6, v14
	s_and_saveexec_b64 s[6:7], vcc
	s_cbranch_execz .LBB22_21
; %bb.2:
	s_load_dwordx2 s[0:1], s[4:5], 0x8
	s_load_dwordx2 s[8:9], s[4:5], 0x20
	v_ashrrev_i32_e32 v7, 31, v6
	v_lshlrev_b64 v[0:1], 4, v[6:7]
	s_mov_b32 s10, 0
	s_waitcnt lgkmcnt(0)
	v_mov_b32_e32 v2, s1
	v_add_co_u32_e32 v0, vcc, s0, v0
	v_addc_co_u32_e32 v1, vcc, v1, v2, vcc
	v_add_co_u32_e32 v8, vcc, 8, v0
	s_mov_b32 s12, 0
	v_addc_co_u32_e32 v9, vcc, 0, v1, vcc
	s_mov_b64 s[4:5], 0
	v_mov_b32_e32 v7, 0
	s_brev_b32 s11, 8
	v_mov_b32_e32 v15, 0x260
	s_mov_b32 s13, 0x38100000
	v_mov_b32_e32 v16, 0xffffff80
	s_branch .LBB22_5
.LBB22_3:                               ;   in Loop: Header=BB22_5 Depth=1
	s_or_b64 exec, exec, s[0:1]
.LBB22_4:                               ;   in Loop: Header=BB22_5 Depth=1
	s_or_b64 exec, exec, s[14:15]
	v_add_u32_e32 v6, 32, v6
	v_add_co_u32_e32 v8, vcc, 0x200, v8
	v_cmp_ge_i32_e64 s[0:1], v6, v14
	s_or_b64 s[4:5], s[0:1], s[4:5]
	v_addc_co_u32_e32 v9, vcc, 0, v9, vcc
	s_andn2_b64 exec, exec, s[4:5]
	s_cbranch_execz .LBB22_20
.LBB22_5:                               ; =>This Inner Loop Header: Depth=1
	global_load_dwordx4 v[0:3], v[8:9], off offset:-8
                                        ; implicit-def: $vgpr12_vgpr13
	s_waitcnt vmcnt(0)
	v_xor_b32_e32 v10, 0x80000000, v1
	v_cmp_gt_f64_e32 vcc, 0, v[0:1]
	v_xor_b32_e32 v11, 0x80000000, v3
	v_cndmask_b32_e32 v1, v1, v10, vcc
	v_cmp_gt_f64_e32 vcc, 0, v[2:3]
	v_cndmask_b32_e32 v11, v3, v11, vcc
	v_mov_b32_e32 v10, v2
	v_cmp_ngt_f64_e64 s[0:1], v[0:1], v[10:11]
	s_and_saveexec_b64 s[14:15], s[0:1]
	s_xor_b64 s[14:15], exec, s[14:15]
	s_cbranch_execnz .LBB22_8
; %bb.6:                                ;   in Loop: Header=BB22_5 Depth=1
	s_andn2_saveexec_b64 s[14:15], s[14:15]
	s_cbranch_execnz .LBB22_11
.LBB22_7:                               ;   in Loop: Header=BB22_5 Depth=1
	s_or_b64 exec, exec, s[14:15]
	v_cmp_lt_f64_e32 vcc, s[8:9], v[12:13]
	s_and_saveexec_b64 s[14:15], vcc
	s_cbranch_execz .LBB22_4
	s_branch .LBB22_12
.LBB22_8:                               ;   in Loop: Header=BB22_5 Depth=1
	v_cmp_neq_f64_e32 vcc, 0, v[2:3]
	v_pk_mov_b32 v[12:13], 0, 0
	s_and_saveexec_b64 s[16:17], vcc
	s_cbranch_execz .LBB22_10
; %bb.9:                                ;   in Loop: Header=BB22_5 Depth=1
	v_div_scale_f64 v[12:13], s[18:19], v[10:11], v[10:11], v[0:1]
	v_rcp_f64_e32 v[18:19], v[12:13]
	v_div_scale_f64 v[20:21], vcc, v[0:1], v[10:11], v[0:1]
	v_fma_f64 v[22:23], -v[12:13], v[18:19], 1.0
	v_fmac_f64_e32 v[18:19], v[18:19], v[22:23]
	v_fma_f64 v[22:23], -v[12:13], v[18:19], 1.0
	v_fmac_f64_e32 v[18:19], v[18:19], v[22:23]
	v_mul_f64 v[22:23], v[20:21], v[18:19]
	v_fma_f64 v[12:13], -v[12:13], v[22:23], v[20:21]
	v_div_fmas_f64 v[12:13], v[12:13], v[18:19], v[22:23]
	v_div_fixup_f64 v[12:13], v[12:13], v[10:11], v[0:1]
	v_fma_f64 v[12:13], v[12:13], v[12:13], 1.0
	v_cmp_gt_f64_e32 vcc, s[10:11], v[12:13]
	v_cndmask_b32_e64 v17, 0, 1, vcc
	v_lshlrev_b32_e32 v17, 8, v17
	v_ldexp_f64 v[12:13], v[12:13], v17
	v_rsq_f64_e32 v[18:19], v[12:13]
	v_cndmask_b32_e32 v17, 0, v16, vcc
	v_cmp_class_f64_e32 vcc, v[12:13], v15
	v_mul_f64 v[20:21], v[12:13], v[18:19]
	v_mul_f64 v[18:19], v[18:19], 0.5
	v_fma_f64 v[22:23], -v[18:19], v[20:21], 0.5
	v_fmac_f64_e32 v[20:21], v[20:21], v[22:23]
	v_fma_f64 v[24:25], -v[20:21], v[20:21], v[12:13]
	v_fmac_f64_e32 v[18:19], v[18:19], v[22:23]
	v_fmac_f64_e32 v[20:21], v[24:25], v[18:19]
	v_fma_f64 v[22:23], -v[20:21], v[20:21], v[12:13]
	v_fmac_f64_e32 v[20:21], v[22:23], v[18:19]
	v_ldexp_f64 v[18:19], v[20:21], v17
	v_cndmask_b32_e32 v13, v19, v13, vcc
	v_cndmask_b32_e32 v12, v18, v12, vcc
	v_mul_f64 v[12:13], v[10:11], v[12:13]
.LBB22_10:                              ;   in Loop: Header=BB22_5 Depth=1
	s_or_b64 exec, exec, s[16:17]
	s_andn2_saveexec_b64 s[14:15], s[14:15]
	s_cbranch_execz .LBB22_7
.LBB22_11:                              ;   in Loop: Header=BB22_5 Depth=1
	v_div_scale_f64 v[12:13], s[16:17], v[0:1], v[0:1], v[10:11]
	v_rcp_f64_e32 v[18:19], v[12:13]
	v_div_scale_f64 v[20:21], vcc, v[10:11], v[0:1], v[10:11]
	v_fma_f64 v[22:23], -v[12:13], v[18:19], 1.0
	v_fmac_f64_e32 v[18:19], v[18:19], v[22:23]
	v_fma_f64 v[22:23], -v[12:13], v[18:19], 1.0
	v_fmac_f64_e32 v[18:19], v[18:19], v[22:23]
	v_mul_f64 v[22:23], v[20:21], v[18:19]
	v_fma_f64 v[12:13], -v[12:13], v[22:23], v[20:21]
	v_div_fmas_f64 v[12:13], v[12:13], v[18:19], v[22:23]
	v_div_fixup_f64 v[12:13], v[12:13], v[0:1], v[10:11]
	v_fma_f64 v[12:13], v[12:13], v[12:13], 1.0
	v_cmp_gt_f64_e32 vcc, s[10:11], v[12:13]
	v_cndmask_b32_e64 v17, 0, 1, vcc
	v_lshlrev_b32_e32 v17, 8, v17
	v_ldexp_f64 v[12:13], v[12:13], v17
	v_rsq_f64_e32 v[18:19], v[12:13]
	v_cndmask_b32_e32 v17, 0, v16, vcc
	v_cmp_class_f64_e32 vcc, v[12:13], v15
	v_mul_f64 v[20:21], v[12:13], v[18:19]
	v_mul_f64 v[18:19], v[18:19], 0.5
	v_fma_f64 v[22:23], -v[18:19], v[20:21], 0.5
	v_fmac_f64_e32 v[20:21], v[20:21], v[22:23]
	v_fma_f64 v[24:25], -v[20:21], v[20:21], v[12:13]
	v_fmac_f64_e32 v[18:19], v[18:19], v[22:23]
	v_fmac_f64_e32 v[20:21], v[24:25], v[18:19]
	v_fma_f64 v[22:23], -v[20:21], v[20:21], v[12:13]
	v_fmac_f64_e32 v[20:21], v[22:23], v[18:19]
	v_ldexp_f64 v[18:19], v[20:21], v17
	v_cndmask_b32_e32 v13, v19, v13, vcc
	v_cndmask_b32_e32 v12, v18, v12, vcc
	v_mul_f64 v[12:13], v[0:1], v[12:13]
	s_or_b64 exec, exec, s[14:15]
	v_cmp_lt_f64_e32 vcc, s[8:9], v[12:13]
	s_and_saveexec_b64 s[14:15], vcc
	s_cbranch_execz .LBB22_4
.LBB22_12:                              ;   in Loop: Header=BB22_5 Depth=1
                                        ; implicit-def: $vgpr12_vgpr13
	s_and_saveexec_b64 s[16:17], s[0:1]
	s_xor_b64 s[0:1], exec, s[16:17]
	s_cbranch_execnz .LBB22_15
; %bb.13:                               ;   in Loop: Header=BB22_5 Depth=1
	s_andn2_saveexec_b64 s[0:1], s[0:1]
	s_cbranch_execnz .LBB22_18
.LBB22_14:                              ;   in Loop: Header=BB22_5 Depth=1
	s_or_b64 exec, exec, s[0:1]
	v_cmp_lt_f64_e32 vcc, s[12:13], v[12:13]
	s_and_saveexec_b64 s[0:1], vcc
	s_cbranch_execz .LBB22_3
	s_branch .LBB22_19
.LBB22_15:                              ;   in Loop: Header=BB22_5 Depth=1
	v_cmp_neq_f64_e32 vcc, 0, v[2:3]
	v_pk_mov_b32 v[12:13], 0, 0
	s_and_saveexec_b64 s[16:17], vcc
	s_cbranch_execz .LBB22_17
; %bb.16:                               ;   in Loop: Header=BB22_5 Depth=1
	v_div_scale_f64 v[2:3], s[18:19], v[10:11], v[10:11], v[0:1]
	v_rcp_f64_e32 v[12:13], v[2:3]
	v_div_scale_f64 v[18:19], vcc, v[0:1], v[10:11], v[0:1]
	v_fma_f64 v[20:21], -v[2:3], v[12:13], 1.0
	v_fmac_f64_e32 v[12:13], v[12:13], v[20:21]
	v_fma_f64 v[20:21], -v[2:3], v[12:13], 1.0
	v_fmac_f64_e32 v[12:13], v[12:13], v[20:21]
	v_mul_f64 v[20:21], v[18:19], v[12:13]
	v_fma_f64 v[2:3], -v[2:3], v[20:21], v[18:19]
	v_div_fmas_f64 v[2:3], v[2:3], v[12:13], v[20:21]
	v_div_fixup_f64 v[0:1], v[2:3], v[10:11], v[0:1]
	v_fma_f64 v[0:1], v[0:1], v[0:1], 1.0
	v_cmp_gt_f64_e32 vcc, s[10:11], v[0:1]
	v_cndmask_b32_e64 v2, 0, 1, vcc
	v_lshlrev_b32_e32 v2, 8, v2
	v_ldexp_f64 v[0:1], v[0:1], v2
	v_rsq_f64_e32 v[2:3], v[0:1]
	v_mul_f64 v[12:13], v[0:1], v[2:3]
	v_mul_f64 v[2:3], v[2:3], 0.5
	v_fma_f64 v[18:19], -v[2:3], v[12:13], 0.5
	v_fmac_f64_e32 v[12:13], v[12:13], v[18:19]
	v_fma_f64 v[20:21], -v[12:13], v[12:13], v[0:1]
	v_fmac_f64_e32 v[2:3], v[2:3], v[18:19]
	v_fmac_f64_e32 v[12:13], v[20:21], v[2:3]
	v_fma_f64 v[18:19], -v[12:13], v[12:13], v[0:1]
	v_fmac_f64_e32 v[12:13], v[18:19], v[2:3]
	v_cndmask_b32_e32 v2, 0, v16, vcc
	v_ldexp_f64 v[2:3], v[12:13], v2
	v_cmp_class_f64_e32 vcc, v[0:1], v15
	v_cndmask_b32_e32 v1, v3, v1, vcc
	v_cndmask_b32_e32 v0, v2, v0, vcc
	v_mul_f64 v[12:13], v[10:11], v[0:1]
.LBB22_17:                              ;   in Loop: Header=BB22_5 Depth=1
	s_or_b64 exec, exec, s[16:17]
                                        ; implicit-def: $vgpr0_vgpr1
                                        ; implicit-def: $vgpr10_vgpr11
	s_andn2_saveexec_b64 s[0:1], s[0:1]
	s_cbranch_execz .LBB22_14
.LBB22_18:                              ;   in Loop: Header=BB22_5 Depth=1
	v_div_scale_f64 v[2:3], s[16:17], v[0:1], v[0:1], v[10:11]
	v_rcp_f64_e32 v[12:13], v[2:3]
	v_div_scale_f64 v[18:19], vcc, v[10:11], v[0:1], v[10:11]
	v_fma_f64 v[20:21], -v[2:3], v[12:13], 1.0
	v_fmac_f64_e32 v[12:13], v[12:13], v[20:21]
	v_fma_f64 v[20:21], -v[2:3], v[12:13], 1.0
	v_fmac_f64_e32 v[12:13], v[12:13], v[20:21]
	v_mul_f64 v[20:21], v[18:19], v[12:13]
	v_fma_f64 v[2:3], -v[2:3], v[20:21], v[18:19]
	v_div_fmas_f64 v[2:3], v[2:3], v[12:13], v[20:21]
	v_div_fixup_f64 v[2:3], v[2:3], v[0:1], v[10:11]
	v_fma_f64 v[2:3], v[2:3], v[2:3], 1.0
	v_cmp_gt_f64_e32 vcc, s[10:11], v[2:3]
	v_cndmask_b32_e64 v10, 0, 1, vcc
	v_lshlrev_b32_e32 v10, 8, v10
	v_ldexp_f64 v[2:3], v[2:3], v10
	v_rsq_f64_e32 v[10:11], v[2:3]
	v_mul_f64 v[12:13], v[2:3], v[10:11]
	v_mul_f64 v[10:11], v[10:11], 0.5
	v_fma_f64 v[18:19], -v[10:11], v[12:13], 0.5
	v_fmac_f64_e32 v[12:13], v[12:13], v[18:19]
	v_fma_f64 v[20:21], -v[12:13], v[12:13], v[2:3]
	v_fmac_f64_e32 v[10:11], v[10:11], v[18:19]
	v_fmac_f64_e32 v[12:13], v[20:21], v[10:11]
	v_fma_f64 v[18:19], -v[12:13], v[12:13], v[2:3]
	v_fmac_f64_e32 v[12:13], v[18:19], v[10:11]
	v_cndmask_b32_e32 v10, 0, v16, vcc
	v_ldexp_f64 v[10:11], v[12:13], v10
	v_cmp_class_f64_e32 vcc, v[2:3], v15
	v_cndmask_b32_e32 v3, v11, v3, vcc
	v_cndmask_b32_e32 v2, v10, v2, vcc
	v_mul_f64 v[12:13], v[0:1], v[2:3]
	s_or_b64 exec, exec, s[0:1]
	v_cmp_lt_f64_e32 vcc, s[12:13], v[12:13]
	s_and_saveexec_b64 s[0:1], vcc
	s_cbranch_execz .LBB22_3
.LBB22_19:                              ;   in Loop: Header=BB22_5 Depth=1
	v_add_u32_e32 v7, 1, v7
	s_branch .LBB22_3
.LBB22_20:
	s_or_b64 exec, exec, s[4:5]
.LBB22_21:
	s_or_b64 exec, exec, s[6:7]
	v_mov_b32_dpp v0, v7 row_shr:1 row_mask:0xf bank_mask:0xf
	v_add_u32_e32 v0, v0, v7
	v_mov_b32_e32 v2, 0x7c
	s_nop 0
	v_mov_b32_dpp v1, v0 row_shr:2 row_mask:0xf bank_mask:0xf
	v_add_u32_e32 v0, v0, v1
	s_nop 1
	v_mov_b32_dpp v1, v0 row_shr:4 row_mask:0xf bank_mask:0xe
	v_add_u32_e32 v0, v0, v1
	;; [unrolled: 3-line block ×3, first 2 shown]
	s_nop 1
	v_mov_b32_dpp v1, v0 row_bcast:15 row_mask:0xa bank_mask:0xf
	v_add_u32_e32 v0, v0, v1
	v_mbcnt_lo_u32_b32 v1, -1, 0
	v_mbcnt_hi_u32_b32 v1, -1, v1
	v_lshl_or_b32 v1, v1, 2, v2
	ds_bpermute_b32 v2, v1, v0
	v_mov_b32_e32 v1, s3
	v_add_co_u32_e32 v0, vcc, s2, v4
	v_addc_co_u32_e32 v1, vcc, v1, v5, vcc
	s_waitcnt lgkmcnt(0)
	global_store_dword v[0:1], v2, off
.LBB22_22:
	s_endpgm
	.section	.rodata,"a",@progbits
	.p2align	6, 0x0
	.amdhsa_kernel _ZN9rocsparseL19nnz_compress_kernelILi1024ELi32ELi32E21rocsparse_complex_numIdEEEvi21rocsparse_index_base_PKT2_PKiPiS4_
		.amdhsa_group_segment_fixed_size 0
		.amdhsa_private_segment_fixed_size 0
		.amdhsa_kernarg_size 48
		.amdhsa_user_sgpr_count 6
		.amdhsa_user_sgpr_private_segment_buffer 1
		.amdhsa_user_sgpr_dispatch_ptr 0
		.amdhsa_user_sgpr_queue_ptr 0
		.amdhsa_user_sgpr_kernarg_segment_ptr 1
		.amdhsa_user_sgpr_dispatch_id 0
		.amdhsa_user_sgpr_flat_scratch_init 0
		.amdhsa_user_sgpr_kernarg_preload_length 0
		.amdhsa_user_sgpr_kernarg_preload_offset 0
		.amdhsa_user_sgpr_private_segment_size 0
		.amdhsa_uses_dynamic_stack 0
		.amdhsa_system_sgpr_private_segment_wavefront_offset 0
		.amdhsa_system_sgpr_workgroup_id_x 1
		.amdhsa_system_sgpr_workgroup_id_y 0
		.amdhsa_system_sgpr_workgroup_id_z 0
		.amdhsa_system_sgpr_workgroup_info 0
		.amdhsa_system_vgpr_workitem_id 0
		.amdhsa_next_free_vgpr 26
		.amdhsa_next_free_sgpr 20
		.amdhsa_accum_offset 28
		.amdhsa_reserve_vcc 1
		.amdhsa_reserve_flat_scratch 0
		.amdhsa_float_round_mode_32 0
		.amdhsa_float_round_mode_16_64 0
		.amdhsa_float_denorm_mode_32 3
		.amdhsa_float_denorm_mode_16_64 3
		.amdhsa_dx10_clamp 1
		.amdhsa_ieee_mode 1
		.amdhsa_fp16_overflow 0
		.amdhsa_tg_split 0
		.amdhsa_exception_fp_ieee_invalid_op 0
		.amdhsa_exception_fp_denorm_src 0
		.amdhsa_exception_fp_ieee_div_zero 0
		.amdhsa_exception_fp_ieee_overflow 0
		.amdhsa_exception_fp_ieee_underflow 0
		.amdhsa_exception_fp_ieee_inexact 0
		.amdhsa_exception_int_div_zero 0
	.end_amdhsa_kernel
	.section	.text._ZN9rocsparseL19nnz_compress_kernelILi1024ELi32ELi32E21rocsparse_complex_numIdEEEvi21rocsparse_index_base_PKT2_PKiPiS4_,"axG",@progbits,_ZN9rocsparseL19nnz_compress_kernelILi1024ELi32ELi32E21rocsparse_complex_numIdEEEvi21rocsparse_index_base_PKT2_PKiPiS4_,comdat
.Lfunc_end22:
	.size	_ZN9rocsparseL19nnz_compress_kernelILi1024ELi32ELi32E21rocsparse_complex_numIdEEEvi21rocsparse_index_base_PKT2_PKiPiS4_, .Lfunc_end22-_ZN9rocsparseL19nnz_compress_kernelILi1024ELi32ELi32E21rocsparse_complex_numIdEEEvi21rocsparse_index_base_PKT2_PKiPiS4_
                                        ; -- End function
	.section	.AMDGPU.csdata,"",@progbits
; Kernel info:
; codeLenInByte = 1452
; NumSgprs: 24
; NumVgprs: 26
; NumAgprs: 0
; TotalNumVgprs: 26
; ScratchSize: 0
; MemoryBound: 0
; FloatMode: 240
; IeeeMode: 1
; LDSByteSize: 0 bytes/workgroup (compile time only)
; SGPRBlocks: 2
; VGPRBlocks: 3
; NumSGPRsForWavesPerEU: 24
; NumVGPRsForWavesPerEU: 26
; AccumOffset: 28
; Occupancy: 8
; WaveLimiterHint : 0
; COMPUTE_PGM_RSRC2:SCRATCH_EN: 0
; COMPUTE_PGM_RSRC2:USER_SGPR: 6
; COMPUTE_PGM_RSRC2:TRAP_HANDLER: 0
; COMPUTE_PGM_RSRC2:TGID_X_EN: 1
; COMPUTE_PGM_RSRC2:TGID_Y_EN: 0
; COMPUTE_PGM_RSRC2:TGID_Z_EN: 0
; COMPUTE_PGM_RSRC2:TIDIG_COMP_CNT: 0
; COMPUTE_PGM_RSRC3_GFX90A:ACCUM_OFFSET: 6
; COMPUTE_PGM_RSRC3_GFX90A:TG_SPLIT: 0
	.section	.text._ZN9rocsparseL19nnz_compress_kernelILi1024ELi16ELi64E21rocsparse_complex_numIdEEEvi21rocsparse_index_base_PKT2_PKiPiS4_,"axG",@progbits,_ZN9rocsparseL19nnz_compress_kernelILi1024ELi16ELi64E21rocsparse_complex_numIdEEEvi21rocsparse_index_base_PKT2_PKiPiS4_,comdat
	.globl	_ZN9rocsparseL19nnz_compress_kernelILi1024ELi16ELi64E21rocsparse_complex_numIdEEEvi21rocsparse_index_base_PKT2_PKiPiS4_ ; -- Begin function _ZN9rocsparseL19nnz_compress_kernelILi1024ELi16ELi64E21rocsparse_complex_numIdEEEvi21rocsparse_index_base_PKT2_PKiPiS4_
	.p2align	8
	.type	_ZN9rocsparseL19nnz_compress_kernelILi1024ELi16ELi64E21rocsparse_complex_numIdEEEvi21rocsparse_index_base_PKT2_PKiPiS4_,@function
_ZN9rocsparseL19nnz_compress_kernelILi1024ELi16ELi64E21rocsparse_complex_numIdEEEvi21rocsparse_index_base_PKT2_PKiPiS4_: ; @_ZN9rocsparseL19nnz_compress_kernelILi1024ELi16ELi64E21rocsparse_complex_numIdEEEvi21rocsparse_index_base_PKT2_PKiPiS4_
; %bb.0:
	s_load_dwordx2 s[8:9], s[4:5], 0x0
	v_lshrrev_b32_e32 v1, 6, v0
	v_lshl_or_b32 v2, s6, 4, v1
	s_waitcnt lgkmcnt(0)
	v_cmp_gt_i32_e32 vcc, s8, v2
	s_and_saveexec_b64 s[0:1], vcc
	s_cbranch_execz .LBB23_22
; %bb.1:
	s_load_dwordx4 s[0:3], s[4:5], 0x10
	v_ashrrev_i32_e32 v3, 31, v2
	v_lshlrev_b64 v[4:5], 2, v[2:3]
	v_and_b32_e32 v0, 63, v0
	v_subrev_u32_e32 v0, s9, v0
	s_waitcnt lgkmcnt(0)
	v_mov_b32_e32 v1, s1
	v_add_co_u32_e32 v2, vcc, s0, v4
	v_addc_co_u32_e32 v3, vcc, v1, v5, vcc
	global_load_dwordx2 v[2:3], v[2:3], off
	v_mov_b32_e32 v7, 0
	s_waitcnt vmcnt(0)
	v_subrev_u32_e32 v14, s9, v3
	v_add_u32_e32 v6, v2, v0
	v_cmp_lt_i32_e32 vcc, v6, v14
	s_and_saveexec_b64 s[6:7], vcc
	s_cbranch_execz .LBB23_21
; %bb.2:
	s_load_dwordx2 s[0:1], s[4:5], 0x8
	s_load_dwordx2 s[8:9], s[4:5], 0x20
	v_ashrrev_i32_e32 v7, 31, v6
	v_lshlrev_b64 v[0:1], 4, v[6:7]
	s_mov_b32 s10, 0
	s_waitcnt lgkmcnt(0)
	v_mov_b32_e32 v2, s1
	v_add_co_u32_e32 v0, vcc, s0, v0
	v_addc_co_u32_e32 v1, vcc, v1, v2, vcc
	v_add_co_u32_e32 v8, vcc, 8, v0
	s_mov_b32 s12, 0
	v_addc_co_u32_e32 v9, vcc, 0, v1, vcc
	s_mov_b64 s[4:5], 0
	v_mov_b32_e32 v7, 0
	s_brev_b32 s11, 8
	v_mov_b32_e32 v15, 0x260
	s_mov_b32 s13, 0x38100000
	v_mov_b32_e32 v16, 0xffffff80
	s_branch .LBB23_5
.LBB23_3:                               ;   in Loop: Header=BB23_5 Depth=1
	s_or_b64 exec, exec, s[0:1]
.LBB23_4:                               ;   in Loop: Header=BB23_5 Depth=1
	s_or_b64 exec, exec, s[14:15]
	v_add_u32_e32 v6, 64, v6
	v_add_co_u32_e32 v8, vcc, 0x400, v8
	v_cmp_ge_i32_e64 s[0:1], v6, v14
	s_or_b64 s[4:5], s[0:1], s[4:5]
	v_addc_co_u32_e32 v9, vcc, 0, v9, vcc
	s_andn2_b64 exec, exec, s[4:5]
	s_cbranch_execz .LBB23_20
.LBB23_5:                               ; =>This Inner Loop Header: Depth=1
	global_load_dwordx4 v[0:3], v[8:9], off offset:-8
                                        ; implicit-def: $vgpr12_vgpr13
	s_waitcnt vmcnt(0)
	v_xor_b32_e32 v10, 0x80000000, v1
	v_cmp_gt_f64_e32 vcc, 0, v[0:1]
	v_xor_b32_e32 v11, 0x80000000, v3
	v_cndmask_b32_e32 v1, v1, v10, vcc
	v_cmp_gt_f64_e32 vcc, 0, v[2:3]
	v_cndmask_b32_e32 v11, v3, v11, vcc
	v_mov_b32_e32 v10, v2
	v_cmp_ngt_f64_e64 s[0:1], v[0:1], v[10:11]
	s_and_saveexec_b64 s[14:15], s[0:1]
	s_xor_b64 s[14:15], exec, s[14:15]
	s_cbranch_execnz .LBB23_8
; %bb.6:                                ;   in Loop: Header=BB23_5 Depth=1
	s_andn2_saveexec_b64 s[14:15], s[14:15]
	s_cbranch_execnz .LBB23_11
.LBB23_7:                               ;   in Loop: Header=BB23_5 Depth=1
	s_or_b64 exec, exec, s[14:15]
	v_cmp_lt_f64_e32 vcc, s[8:9], v[12:13]
	s_and_saveexec_b64 s[14:15], vcc
	s_cbranch_execz .LBB23_4
	s_branch .LBB23_12
.LBB23_8:                               ;   in Loop: Header=BB23_5 Depth=1
	v_cmp_neq_f64_e32 vcc, 0, v[2:3]
	v_pk_mov_b32 v[12:13], 0, 0
	s_and_saveexec_b64 s[16:17], vcc
	s_cbranch_execz .LBB23_10
; %bb.9:                                ;   in Loop: Header=BB23_5 Depth=1
	v_div_scale_f64 v[12:13], s[18:19], v[10:11], v[10:11], v[0:1]
	v_rcp_f64_e32 v[18:19], v[12:13]
	v_div_scale_f64 v[20:21], vcc, v[0:1], v[10:11], v[0:1]
	v_fma_f64 v[22:23], -v[12:13], v[18:19], 1.0
	v_fmac_f64_e32 v[18:19], v[18:19], v[22:23]
	v_fma_f64 v[22:23], -v[12:13], v[18:19], 1.0
	v_fmac_f64_e32 v[18:19], v[18:19], v[22:23]
	v_mul_f64 v[22:23], v[20:21], v[18:19]
	v_fma_f64 v[12:13], -v[12:13], v[22:23], v[20:21]
	v_div_fmas_f64 v[12:13], v[12:13], v[18:19], v[22:23]
	v_div_fixup_f64 v[12:13], v[12:13], v[10:11], v[0:1]
	v_fma_f64 v[12:13], v[12:13], v[12:13], 1.0
	v_cmp_gt_f64_e32 vcc, s[10:11], v[12:13]
	v_cndmask_b32_e64 v17, 0, 1, vcc
	v_lshlrev_b32_e32 v17, 8, v17
	v_ldexp_f64 v[12:13], v[12:13], v17
	v_rsq_f64_e32 v[18:19], v[12:13]
	v_cndmask_b32_e32 v17, 0, v16, vcc
	v_cmp_class_f64_e32 vcc, v[12:13], v15
	v_mul_f64 v[20:21], v[12:13], v[18:19]
	v_mul_f64 v[18:19], v[18:19], 0.5
	v_fma_f64 v[22:23], -v[18:19], v[20:21], 0.5
	v_fmac_f64_e32 v[20:21], v[20:21], v[22:23]
	v_fma_f64 v[24:25], -v[20:21], v[20:21], v[12:13]
	v_fmac_f64_e32 v[18:19], v[18:19], v[22:23]
	v_fmac_f64_e32 v[20:21], v[24:25], v[18:19]
	v_fma_f64 v[22:23], -v[20:21], v[20:21], v[12:13]
	v_fmac_f64_e32 v[20:21], v[22:23], v[18:19]
	v_ldexp_f64 v[18:19], v[20:21], v17
	v_cndmask_b32_e32 v13, v19, v13, vcc
	v_cndmask_b32_e32 v12, v18, v12, vcc
	v_mul_f64 v[12:13], v[10:11], v[12:13]
.LBB23_10:                              ;   in Loop: Header=BB23_5 Depth=1
	s_or_b64 exec, exec, s[16:17]
	s_andn2_saveexec_b64 s[14:15], s[14:15]
	s_cbranch_execz .LBB23_7
.LBB23_11:                              ;   in Loop: Header=BB23_5 Depth=1
	v_div_scale_f64 v[12:13], s[16:17], v[0:1], v[0:1], v[10:11]
	v_rcp_f64_e32 v[18:19], v[12:13]
	v_div_scale_f64 v[20:21], vcc, v[10:11], v[0:1], v[10:11]
	v_fma_f64 v[22:23], -v[12:13], v[18:19], 1.0
	v_fmac_f64_e32 v[18:19], v[18:19], v[22:23]
	v_fma_f64 v[22:23], -v[12:13], v[18:19], 1.0
	v_fmac_f64_e32 v[18:19], v[18:19], v[22:23]
	v_mul_f64 v[22:23], v[20:21], v[18:19]
	v_fma_f64 v[12:13], -v[12:13], v[22:23], v[20:21]
	v_div_fmas_f64 v[12:13], v[12:13], v[18:19], v[22:23]
	v_div_fixup_f64 v[12:13], v[12:13], v[0:1], v[10:11]
	v_fma_f64 v[12:13], v[12:13], v[12:13], 1.0
	v_cmp_gt_f64_e32 vcc, s[10:11], v[12:13]
	v_cndmask_b32_e64 v17, 0, 1, vcc
	v_lshlrev_b32_e32 v17, 8, v17
	v_ldexp_f64 v[12:13], v[12:13], v17
	v_rsq_f64_e32 v[18:19], v[12:13]
	v_cndmask_b32_e32 v17, 0, v16, vcc
	v_cmp_class_f64_e32 vcc, v[12:13], v15
	v_mul_f64 v[20:21], v[12:13], v[18:19]
	v_mul_f64 v[18:19], v[18:19], 0.5
	v_fma_f64 v[22:23], -v[18:19], v[20:21], 0.5
	v_fmac_f64_e32 v[20:21], v[20:21], v[22:23]
	v_fma_f64 v[24:25], -v[20:21], v[20:21], v[12:13]
	v_fmac_f64_e32 v[18:19], v[18:19], v[22:23]
	v_fmac_f64_e32 v[20:21], v[24:25], v[18:19]
	v_fma_f64 v[22:23], -v[20:21], v[20:21], v[12:13]
	v_fmac_f64_e32 v[20:21], v[22:23], v[18:19]
	v_ldexp_f64 v[18:19], v[20:21], v17
	v_cndmask_b32_e32 v13, v19, v13, vcc
	v_cndmask_b32_e32 v12, v18, v12, vcc
	v_mul_f64 v[12:13], v[0:1], v[12:13]
	s_or_b64 exec, exec, s[14:15]
	v_cmp_lt_f64_e32 vcc, s[8:9], v[12:13]
	s_and_saveexec_b64 s[14:15], vcc
	s_cbranch_execz .LBB23_4
.LBB23_12:                              ;   in Loop: Header=BB23_5 Depth=1
                                        ; implicit-def: $vgpr12_vgpr13
	s_and_saveexec_b64 s[16:17], s[0:1]
	s_xor_b64 s[0:1], exec, s[16:17]
	s_cbranch_execnz .LBB23_15
; %bb.13:                               ;   in Loop: Header=BB23_5 Depth=1
	s_andn2_saveexec_b64 s[0:1], s[0:1]
	s_cbranch_execnz .LBB23_18
.LBB23_14:                              ;   in Loop: Header=BB23_5 Depth=1
	s_or_b64 exec, exec, s[0:1]
	v_cmp_lt_f64_e32 vcc, s[12:13], v[12:13]
	s_and_saveexec_b64 s[0:1], vcc
	s_cbranch_execz .LBB23_3
	s_branch .LBB23_19
.LBB23_15:                              ;   in Loop: Header=BB23_5 Depth=1
	v_cmp_neq_f64_e32 vcc, 0, v[2:3]
	v_pk_mov_b32 v[12:13], 0, 0
	s_and_saveexec_b64 s[16:17], vcc
	s_cbranch_execz .LBB23_17
; %bb.16:                               ;   in Loop: Header=BB23_5 Depth=1
	v_div_scale_f64 v[2:3], s[18:19], v[10:11], v[10:11], v[0:1]
	v_rcp_f64_e32 v[12:13], v[2:3]
	v_div_scale_f64 v[18:19], vcc, v[0:1], v[10:11], v[0:1]
	v_fma_f64 v[20:21], -v[2:3], v[12:13], 1.0
	v_fmac_f64_e32 v[12:13], v[12:13], v[20:21]
	v_fma_f64 v[20:21], -v[2:3], v[12:13], 1.0
	v_fmac_f64_e32 v[12:13], v[12:13], v[20:21]
	v_mul_f64 v[20:21], v[18:19], v[12:13]
	v_fma_f64 v[2:3], -v[2:3], v[20:21], v[18:19]
	v_div_fmas_f64 v[2:3], v[2:3], v[12:13], v[20:21]
	v_div_fixup_f64 v[0:1], v[2:3], v[10:11], v[0:1]
	v_fma_f64 v[0:1], v[0:1], v[0:1], 1.0
	v_cmp_gt_f64_e32 vcc, s[10:11], v[0:1]
	v_cndmask_b32_e64 v2, 0, 1, vcc
	v_lshlrev_b32_e32 v2, 8, v2
	v_ldexp_f64 v[0:1], v[0:1], v2
	v_rsq_f64_e32 v[2:3], v[0:1]
	v_mul_f64 v[12:13], v[0:1], v[2:3]
	v_mul_f64 v[2:3], v[2:3], 0.5
	v_fma_f64 v[18:19], -v[2:3], v[12:13], 0.5
	v_fmac_f64_e32 v[12:13], v[12:13], v[18:19]
	v_fma_f64 v[20:21], -v[12:13], v[12:13], v[0:1]
	v_fmac_f64_e32 v[2:3], v[2:3], v[18:19]
	v_fmac_f64_e32 v[12:13], v[20:21], v[2:3]
	v_fma_f64 v[18:19], -v[12:13], v[12:13], v[0:1]
	v_fmac_f64_e32 v[12:13], v[18:19], v[2:3]
	v_cndmask_b32_e32 v2, 0, v16, vcc
	v_ldexp_f64 v[2:3], v[12:13], v2
	v_cmp_class_f64_e32 vcc, v[0:1], v15
	v_cndmask_b32_e32 v1, v3, v1, vcc
	v_cndmask_b32_e32 v0, v2, v0, vcc
	v_mul_f64 v[12:13], v[10:11], v[0:1]
.LBB23_17:                              ;   in Loop: Header=BB23_5 Depth=1
	s_or_b64 exec, exec, s[16:17]
                                        ; implicit-def: $vgpr0_vgpr1
                                        ; implicit-def: $vgpr10_vgpr11
	s_andn2_saveexec_b64 s[0:1], s[0:1]
	s_cbranch_execz .LBB23_14
.LBB23_18:                              ;   in Loop: Header=BB23_5 Depth=1
	v_div_scale_f64 v[2:3], s[16:17], v[0:1], v[0:1], v[10:11]
	v_rcp_f64_e32 v[12:13], v[2:3]
	v_div_scale_f64 v[18:19], vcc, v[10:11], v[0:1], v[10:11]
	v_fma_f64 v[20:21], -v[2:3], v[12:13], 1.0
	v_fmac_f64_e32 v[12:13], v[12:13], v[20:21]
	v_fma_f64 v[20:21], -v[2:3], v[12:13], 1.0
	v_fmac_f64_e32 v[12:13], v[12:13], v[20:21]
	v_mul_f64 v[20:21], v[18:19], v[12:13]
	v_fma_f64 v[2:3], -v[2:3], v[20:21], v[18:19]
	v_div_fmas_f64 v[2:3], v[2:3], v[12:13], v[20:21]
	v_div_fixup_f64 v[2:3], v[2:3], v[0:1], v[10:11]
	v_fma_f64 v[2:3], v[2:3], v[2:3], 1.0
	v_cmp_gt_f64_e32 vcc, s[10:11], v[2:3]
	v_cndmask_b32_e64 v10, 0, 1, vcc
	v_lshlrev_b32_e32 v10, 8, v10
	v_ldexp_f64 v[2:3], v[2:3], v10
	v_rsq_f64_e32 v[10:11], v[2:3]
	v_mul_f64 v[12:13], v[2:3], v[10:11]
	v_mul_f64 v[10:11], v[10:11], 0.5
	v_fma_f64 v[18:19], -v[10:11], v[12:13], 0.5
	v_fmac_f64_e32 v[12:13], v[12:13], v[18:19]
	v_fma_f64 v[20:21], -v[12:13], v[12:13], v[2:3]
	v_fmac_f64_e32 v[10:11], v[10:11], v[18:19]
	v_fmac_f64_e32 v[12:13], v[20:21], v[10:11]
	v_fma_f64 v[18:19], -v[12:13], v[12:13], v[2:3]
	v_fmac_f64_e32 v[12:13], v[18:19], v[10:11]
	v_cndmask_b32_e32 v10, 0, v16, vcc
	v_ldexp_f64 v[10:11], v[12:13], v10
	v_cmp_class_f64_e32 vcc, v[2:3], v15
	v_cndmask_b32_e32 v3, v11, v3, vcc
	v_cndmask_b32_e32 v2, v10, v2, vcc
	v_mul_f64 v[12:13], v[0:1], v[2:3]
	s_or_b64 exec, exec, s[0:1]
	v_cmp_lt_f64_e32 vcc, s[12:13], v[12:13]
	s_and_saveexec_b64 s[0:1], vcc
	s_cbranch_execz .LBB23_3
.LBB23_19:                              ;   in Loop: Header=BB23_5 Depth=1
	v_add_u32_e32 v7, 1, v7
	s_branch .LBB23_3
.LBB23_20:
	s_or_b64 exec, exec, s[4:5]
.LBB23_21:
	s_or_b64 exec, exec, s[6:7]
	v_mov_b32_dpp v0, v7 row_shr:1 row_mask:0xf bank_mask:0xf
	v_add_u32_e32 v0, v0, v7
	v_bfrev_b32_e32 v2, 0.5
	s_nop 0
	v_mov_b32_dpp v1, v0 row_shr:2 row_mask:0xf bank_mask:0xf
	v_add_u32_e32 v0, v0, v1
	s_nop 1
	v_mov_b32_dpp v1, v0 row_shr:4 row_mask:0xf bank_mask:0xe
	v_add_u32_e32 v0, v0, v1
	s_nop 1
	v_mov_b32_dpp v1, v0 row_shr:8 row_mask:0xf bank_mask:0xc
	v_add_u32_e32 v0, v0, v1
	s_nop 1
	v_mov_b32_dpp v1, v0 row_bcast:15 row_mask:0xa bank_mask:0xf
	v_add_u32_e32 v0, v0, v1
	s_nop 1
	v_mov_b32_dpp v1, v0 row_bcast:31 row_mask:0xc bank_mask:0xf
	v_add_u32_e32 v0, v0, v1
	v_mbcnt_lo_u32_b32 v1, -1, 0
	v_mbcnt_hi_u32_b32 v1, -1, v1
	v_lshl_or_b32 v1, v1, 2, v2
	ds_bpermute_b32 v2, v1, v0
	v_mov_b32_e32 v1, s3
	v_add_co_u32_e32 v0, vcc, s2, v4
	v_addc_co_u32_e32 v1, vcc, v1, v5, vcc
	s_waitcnt lgkmcnt(0)
	global_store_dword v[0:1], v2, off
.LBB23_22:
	s_endpgm
	.section	.rodata,"a",@progbits
	.p2align	6, 0x0
	.amdhsa_kernel _ZN9rocsparseL19nnz_compress_kernelILi1024ELi16ELi64E21rocsparse_complex_numIdEEEvi21rocsparse_index_base_PKT2_PKiPiS4_
		.amdhsa_group_segment_fixed_size 0
		.amdhsa_private_segment_fixed_size 0
		.amdhsa_kernarg_size 48
		.amdhsa_user_sgpr_count 6
		.amdhsa_user_sgpr_private_segment_buffer 1
		.amdhsa_user_sgpr_dispatch_ptr 0
		.amdhsa_user_sgpr_queue_ptr 0
		.amdhsa_user_sgpr_kernarg_segment_ptr 1
		.amdhsa_user_sgpr_dispatch_id 0
		.amdhsa_user_sgpr_flat_scratch_init 0
		.amdhsa_user_sgpr_kernarg_preload_length 0
		.amdhsa_user_sgpr_kernarg_preload_offset 0
		.amdhsa_user_sgpr_private_segment_size 0
		.amdhsa_uses_dynamic_stack 0
		.amdhsa_system_sgpr_private_segment_wavefront_offset 0
		.amdhsa_system_sgpr_workgroup_id_x 1
		.amdhsa_system_sgpr_workgroup_id_y 0
		.amdhsa_system_sgpr_workgroup_id_z 0
		.amdhsa_system_sgpr_workgroup_info 0
		.amdhsa_system_vgpr_workitem_id 0
		.amdhsa_next_free_vgpr 26
		.amdhsa_next_free_sgpr 20
		.amdhsa_accum_offset 28
		.amdhsa_reserve_vcc 1
		.amdhsa_reserve_flat_scratch 0
		.amdhsa_float_round_mode_32 0
		.amdhsa_float_round_mode_16_64 0
		.amdhsa_float_denorm_mode_32 3
		.amdhsa_float_denorm_mode_16_64 3
		.amdhsa_dx10_clamp 1
		.amdhsa_ieee_mode 1
		.amdhsa_fp16_overflow 0
		.amdhsa_tg_split 0
		.amdhsa_exception_fp_ieee_invalid_op 0
		.amdhsa_exception_fp_denorm_src 0
		.amdhsa_exception_fp_ieee_div_zero 0
		.amdhsa_exception_fp_ieee_overflow 0
		.amdhsa_exception_fp_ieee_underflow 0
		.amdhsa_exception_fp_ieee_inexact 0
		.amdhsa_exception_int_div_zero 0
	.end_amdhsa_kernel
	.section	.text._ZN9rocsparseL19nnz_compress_kernelILi1024ELi16ELi64E21rocsparse_complex_numIdEEEvi21rocsparse_index_base_PKT2_PKiPiS4_,"axG",@progbits,_ZN9rocsparseL19nnz_compress_kernelILi1024ELi16ELi64E21rocsparse_complex_numIdEEEvi21rocsparse_index_base_PKT2_PKiPiS4_,comdat
.Lfunc_end23:
	.size	_ZN9rocsparseL19nnz_compress_kernelILi1024ELi16ELi64E21rocsparse_complex_numIdEEEvi21rocsparse_index_base_PKT2_PKiPiS4_, .Lfunc_end23-_ZN9rocsparseL19nnz_compress_kernelILi1024ELi16ELi64E21rocsparse_complex_numIdEEEvi21rocsparse_index_base_PKT2_PKiPiS4_
                                        ; -- End function
	.section	.AMDGPU.csdata,"",@progbits
; Kernel info:
; codeLenInByte = 1464
; NumSgprs: 24
; NumVgprs: 26
; NumAgprs: 0
; TotalNumVgprs: 26
; ScratchSize: 0
; MemoryBound: 0
; FloatMode: 240
; IeeeMode: 1
; LDSByteSize: 0 bytes/workgroup (compile time only)
; SGPRBlocks: 2
; VGPRBlocks: 3
; NumSGPRsForWavesPerEU: 24
; NumVGPRsForWavesPerEU: 26
; AccumOffset: 28
; Occupancy: 8
; WaveLimiterHint : 0
; COMPUTE_PGM_RSRC2:SCRATCH_EN: 0
; COMPUTE_PGM_RSRC2:USER_SGPR: 6
; COMPUTE_PGM_RSRC2:TRAP_HANDLER: 0
; COMPUTE_PGM_RSRC2:TGID_X_EN: 1
; COMPUTE_PGM_RSRC2:TGID_Y_EN: 0
; COMPUTE_PGM_RSRC2:TGID_Z_EN: 0
; COMPUTE_PGM_RSRC2:TIDIG_COMP_CNT: 0
; COMPUTE_PGM_RSRC3_GFX90A:ACCUM_OFFSET: 6
; COMPUTE_PGM_RSRC3_GFX90A:TG_SPLIT: 0
	.text
	.p2alignl 6, 3212836864
	.fill 256, 4, 3212836864
	.type	__hip_cuid_6b198ca9edfb3032,@object ; @__hip_cuid_6b198ca9edfb3032
	.section	.bss,"aw",@nobits
	.globl	__hip_cuid_6b198ca9edfb3032
__hip_cuid_6b198ca9edfb3032:
	.byte	0                               ; 0x0
	.size	__hip_cuid_6b198ca9edfb3032, 1

	.ident	"AMD clang version 19.0.0git (https://github.com/RadeonOpenCompute/llvm-project roc-6.4.0 25133 c7fe45cf4b819c5991fe208aaa96edf142730f1d)"
	.section	".note.GNU-stack","",@progbits
	.addrsig
	.addrsig_sym __hip_cuid_6b198ca9edfb3032
	.amdgpu_metadata
---
amdhsa.kernels:
  - .agpr_count:     0
    .args:
      - .offset:         0
        .size:           4
        .value_kind:     by_value
      - .offset:         4
        .size:           4
        .value_kind:     by_value
      - .actual_access:  read_only
        .address_space:  global
        .offset:         8
        .size:           8
        .value_kind:     global_buffer
      - .actual_access:  read_only
        .address_space:  global
        .offset:         16
        .size:           8
        .value_kind:     global_buffer
      - .actual_access:  write_only
        .address_space:  global
        .offset:         24
        .size:           8
        .value_kind:     global_buffer
      - .offset:         32
        .size:           4
        .value_kind:     by_value
    .group_segment_fixed_size: 0
    .kernarg_segment_align: 8
    .kernarg_segment_size: 36
    .language:       OpenCL C
    .language_version:
      - 2
      - 0
    .max_flat_workgroup_size: 1024
    .name:           _ZN9rocsparseL19nnz_compress_kernelILi1024ELi512ELi2EfEEvi21rocsparse_index_base_PKT2_PKiPiS2_
    .private_segment_fixed_size: 0
    .sgpr_count:     25
    .sgpr_spill_count: 0
    .symbol:         _ZN9rocsparseL19nnz_compress_kernelILi1024ELi512ELi2EfEEvi21rocsparse_index_base_PKT2_PKiPiS2_.kd
    .uniform_work_group_size: 1
    .uses_dynamic_stack: false
    .vgpr_count:     18
    .vgpr_spill_count: 0
    .wavefront_size: 64
  - .agpr_count:     0
    .args:
      - .offset:         0
        .size:           4
        .value_kind:     by_value
      - .offset:         4
        .size:           4
        .value_kind:     by_value
      - .actual_access:  read_only
        .address_space:  global
        .offset:         8
        .size:           8
        .value_kind:     global_buffer
      - .actual_access:  read_only
        .address_space:  global
        .offset:         16
        .size:           8
        .value_kind:     global_buffer
      - .actual_access:  write_only
        .address_space:  global
        .offset:         24
        .size:           8
        .value_kind:     global_buffer
      - .offset:         32
        .size:           4
        .value_kind:     by_value
    .group_segment_fixed_size: 0
    .kernarg_segment_align: 8
    .kernarg_segment_size: 36
    .language:       OpenCL C
    .language_version:
      - 2
      - 0
    .max_flat_workgroup_size: 1024
    .name:           _ZN9rocsparseL19nnz_compress_kernelILi1024ELi256ELi4EfEEvi21rocsparse_index_base_PKT2_PKiPiS2_
    .private_segment_fixed_size: 0
    .sgpr_count:     25
    .sgpr_spill_count: 0
    .symbol:         _ZN9rocsparseL19nnz_compress_kernelILi1024ELi256ELi4EfEEvi21rocsparse_index_base_PKT2_PKiPiS2_.kd
    .uniform_work_group_size: 1
    .uses_dynamic_stack: false
    .vgpr_count:     18
    .vgpr_spill_count: 0
    .wavefront_size: 64
  - .agpr_count:     0
    .args:
      - .offset:         0
        .size:           4
        .value_kind:     by_value
      - .offset:         4
        .size:           4
        .value_kind:     by_value
      - .actual_access:  read_only
        .address_space:  global
        .offset:         8
        .size:           8
        .value_kind:     global_buffer
      - .actual_access:  read_only
        .address_space:  global
        .offset:         16
        .size:           8
        .value_kind:     global_buffer
      - .actual_access:  write_only
        .address_space:  global
        .offset:         24
        .size:           8
        .value_kind:     global_buffer
      - .offset:         32
        .size:           4
        .value_kind:     by_value
    .group_segment_fixed_size: 0
    .kernarg_segment_align: 8
    .kernarg_segment_size: 36
    .language:       OpenCL C
    .language_version:
      - 2
      - 0
    .max_flat_workgroup_size: 1024
    .name:           _ZN9rocsparseL19nnz_compress_kernelILi1024ELi128ELi8EfEEvi21rocsparse_index_base_PKT2_PKiPiS2_
    .private_segment_fixed_size: 0
    .sgpr_count:     25
    .sgpr_spill_count: 0
    .symbol:         _ZN9rocsparseL19nnz_compress_kernelILi1024ELi128ELi8EfEEvi21rocsparse_index_base_PKT2_PKiPiS2_.kd
    .uniform_work_group_size: 1
    .uses_dynamic_stack: false
    .vgpr_count:     18
    .vgpr_spill_count: 0
    .wavefront_size: 64
  - .agpr_count:     0
    .args:
      - .offset:         0
        .size:           4
        .value_kind:     by_value
      - .offset:         4
        .size:           4
        .value_kind:     by_value
      - .actual_access:  read_only
        .address_space:  global
        .offset:         8
        .size:           8
        .value_kind:     global_buffer
      - .actual_access:  read_only
        .address_space:  global
        .offset:         16
        .size:           8
        .value_kind:     global_buffer
      - .actual_access:  write_only
        .address_space:  global
        .offset:         24
        .size:           8
        .value_kind:     global_buffer
      - .offset:         32
        .size:           4
        .value_kind:     by_value
    .group_segment_fixed_size: 0
    .kernarg_segment_align: 8
    .kernarg_segment_size: 36
    .language:       OpenCL C
    .language_version:
      - 2
      - 0
    .max_flat_workgroup_size: 1024
    .name:           _ZN9rocsparseL19nnz_compress_kernelILi1024ELi64ELi16EfEEvi21rocsparse_index_base_PKT2_PKiPiS2_
    .private_segment_fixed_size: 0
    .sgpr_count:     25
    .sgpr_spill_count: 0
    .symbol:         _ZN9rocsparseL19nnz_compress_kernelILi1024ELi64ELi16EfEEvi21rocsparse_index_base_PKT2_PKiPiS2_.kd
    .uniform_work_group_size: 1
    .uses_dynamic_stack: false
    .vgpr_count:     18
    .vgpr_spill_count: 0
    .wavefront_size: 64
  - .agpr_count:     0
    .args:
      - .offset:         0
        .size:           4
        .value_kind:     by_value
      - .offset:         4
        .size:           4
        .value_kind:     by_value
      - .actual_access:  read_only
        .address_space:  global
        .offset:         8
        .size:           8
        .value_kind:     global_buffer
      - .actual_access:  read_only
        .address_space:  global
        .offset:         16
        .size:           8
        .value_kind:     global_buffer
      - .actual_access:  write_only
        .address_space:  global
        .offset:         24
        .size:           8
        .value_kind:     global_buffer
      - .offset:         32
        .size:           4
        .value_kind:     by_value
    .group_segment_fixed_size: 0
    .kernarg_segment_align: 8
    .kernarg_segment_size: 36
    .language:       OpenCL C
    .language_version:
      - 2
      - 0
    .max_flat_workgroup_size: 1024
    .name:           _ZN9rocsparseL19nnz_compress_kernelILi1024ELi32ELi32EfEEvi21rocsparse_index_base_PKT2_PKiPiS2_
    .private_segment_fixed_size: 0
    .sgpr_count:     25
    .sgpr_spill_count: 0
    .symbol:         _ZN9rocsparseL19nnz_compress_kernelILi1024ELi32ELi32EfEEvi21rocsparse_index_base_PKT2_PKiPiS2_.kd
    .uniform_work_group_size: 1
    .uses_dynamic_stack: false
    .vgpr_count:     18
    .vgpr_spill_count: 0
    .wavefront_size: 64
  - .agpr_count:     0
    .args:
      - .offset:         0
        .size:           4
        .value_kind:     by_value
      - .offset:         4
        .size:           4
        .value_kind:     by_value
      - .actual_access:  read_only
        .address_space:  global
        .offset:         8
        .size:           8
        .value_kind:     global_buffer
      - .actual_access:  read_only
        .address_space:  global
        .offset:         16
        .size:           8
        .value_kind:     global_buffer
      - .actual_access:  write_only
        .address_space:  global
        .offset:         24
        .size:           8
        .value_kind:     global_buffer
      - .offset:         32
        .size:           4
        .value_kind:     by_value
    .group_segment_fixed_size: 0
    .kernarg_segment_align: 8
    .kernarg_segment_size: 36
    .language:       OpenCL C
    .language_version:
      - 2
      - 0
    .max_flat_workgroup_size: 1024
    .name:           _ZN9rocsparseL19nnz_compress_kernelILi1024ELi16ELi64EfEEvi21rocsparse_index_base_PKT2_PKiPiS2_
    .private_segment_fixed_size: 0
    .sgpr_count:     25
    .sgpr_spill_count: 0
    .symbol:         _ZN9rocsparseL19nnz_compress_kernelILi1024ELi16ELi64EfEEvi21rocsparse_index_base_PKT2_PKiPiS2_.kd
    .uniform_work_group_size: 1
    .uses_dynamic_stack: false
    .vgpr_count:     18
    .vgpr_spill_count: 0
    .wavefront_size: 64
  - .agpr_count:     0
    .args:
      - .offset:         0
        .size:           4
        .value_kind:     by_value
      - .offset:         4
        .size:           4
        .value_kind:     by_value
      - .actual_access:  read_only
        .address_space:  global
        .offset:         8
        .size:           8
        .value_kind:     global_buffer
      - .actual_access:  read_only
        .address_space:  global
        .offset:         16
        .size:           8
        .value_kind:     global_buffer
      - .actual_access:  write_only
        .address_space:  global
        .offset:         24
        .size:           8
        .value_kind:     global_buffer
      - .offset:         32
        .size:           8
        .value_kind:     by_value
    .group_segment_fixed_size: 0
    .kernarg_segment_align: 8
    .kernarg_segment_size: 40
    .language:       OpenCL C
    .language_version:
      - 2
      - 0
    .max_flat_workgroup_size: 1024
    .name:           _ZN9rocsparseL19nnz_compress_kernelILi1024ELi512ELi2EdEEvi21rocsparse_index_base_PKT2_PKiPiS2_
    .private_segment_fixed_size: 0
    .sgpr_count:     18
    .sgpr_spill_count: 0
    .symbol:         _ZN9rocsparseL19nnz_compress_kernelILi1024ELi512ELi2EdEEvi21rocsparse_index_base_PKT2_PKiPiS2_.kd
    .uniform_work_group_size: 1
    .uses_dynamic_stack: false
    .vgpr_count:     10
    .vgpr_spill_count: 0
    .wavefront_size: 64
  - .agpr_count:     0
    .args:
      - .offset:         0
        .size:           4
        .value_kind:     by_value
      - .offset:         4
        .size:           4
        .value_kind:     by_value
      - .actual_access:  read_only
        .address_space:  global
        .offset:         8
        .size:           8
        .value_kind:     global_buffer
      - .actual_access:  read_only
        .address_space:  global
        .offset:         16
        .size:           8
        .value_kind:     global_buffer
      - .actual_access:  write_only
        .address_space:  global
        .offset:         24
        .size:           8
        .value_kind:     global_buffer
      - .offset:         32
        .size:           8
        .value_kind:     by_value
    .group_segment_fixed_size: 0
    .kernarg_segment_align: 8
    .kernarg_segment_size: 40
    .language:       OpenCL C
    .language_version:
      - 2
      - 0
    .max_flat_workgroup_size: 1024
    .name:           _ZN9rocsparseL19nnz_compress_kernelILi1024ELi256ELi4EdEEvi21rocsparse_index_base_PKT2_PKiPiS2_
    .private_segment_fixed_size: 0
    .sgpr_count:     18
    .sgpr_spill_count: 0
    .symbol:         _ZN9rocsparseL19nnz_compress_kernelILi1024ELi256ELi4EdEEvi21rocsparse_index_base_PKT2_PKiPiS2_.kd
    .uniform_work_group_size: 1
    .uses_dynamic_stack: false
    .vgpr_count:     10
    .vgpr_spill_count: 0
    .wavefront_size: 64
  - .agpr_count:     0
    .args:
      - .offset:         0
        .size:           4
        .value_kind:     by_value
      - .offset:         4
        .size:           4
        .value_kind:     by_value
      - .actual_access:  read_only
        .address_space:  global
        .offset:         8
        .size:           8
        .value_kind:     global_buffer
      - .actual_access:  read_only
        .address_space:  global
        .offset:         16
        .size:           8
        .value_kind:     global_buffer
      - .actual_access:  write_only
        .address_space:  global
        .offset:         24
        .size:           8
        .value_kind:     global_buffer
      - .offset:         32
        .size:           8
        .value_kind:     by_value
    .group_segment_fixed_size: 0
    .kernarg_segment_align: 8
    .kernarg_segment_size: 40
    .language:       OpenCL C
    .language_version:
      - 2
      - 0
    .max_flat_workgroup_size: 1024
    .name:           _ZN9rocsparseL19nnz_compress_kernelILi1024ELi128ELi8EdEEvi21rocsparse_index_base_PKT2_PKiPiS2_
    .private_segment_fixed_size: 0
    .sgpr_count:     18
    .sgpr_spill_count: 0
    .symbol:         _ZN9rocsparseL19nnz_compress_kernelILi1024ELi128ELi8EdEEvi21rocsparse_index_base_PKT2_PKiPiS2_.kd
    .uniform_work_group_size: 1
    .uses_dynamic_stack: false
    .vgpr_count:     10
    .vgpr_spill_count: 0
    .wavefront_size: 64
  - .agpr_count:     0
    .args:
      - .offset:         0
        .size:           4
        .value_kind:     by_value
      - .offset:         4
        .size:           4
        .value_kind:     by_value
      - .actual_access:  read_only
        .address_space:  global
        .offset:         8
        .size:           8
        .value_kind:     global_buffer
      - .actual_access:  read_only
        .address_space:  global
        .offset:         16
        .size:           8
        .value_kind:     global_buffer
      - .actual_access:  write_only
        .address_space:  global
        .offset:         24
        .size:           8
        .value_kind:     global_buffer
      - .offset:         32
        .size:           8
        .value_kind:     by_value
    .group_segment_fixed_size: 0
    .kernarg_segment_align: 8
    .kernarg_segment_size: 40
    .language:       OpenCL C
    .language_version:
      - 2
      - 0
    .max_flat_workgroup_size: 1024
    .name:           _ZN9rocsparseL19nnz_compress_kernelILi1024ELi64ELi16EdEEvi21rocsparse_index_base_PKT2_PKiPiS2_
    .private_segment_fixed_size: 0
    .sgpr_count:     18
    .sgpr_spill_count: 0
    .symbol:         _ZN9rocsparseL19nnz_compress_kernelILi1024ELi64ELi16EdEEvi21rocsparse_index_base_PKT2_PKiPiS2_.kd
    .uniform_work_group_size: 1
    .uses_dynamic_stack: false
    .vgpr_count:     10
    .vgpr_spill_count: 0
    .wavefront_size: 64
  - .agpr_count:     0
    .args:
      - .offset:         0
        .size:           4
        .value_kind:     by_value
      - .offset:         4
        .size:           4
        .value_kind:     by_value
      - .actual_access:  read_only
        .address_space:  global
        .offset:         8
        .size:           8
        .value_kind:     global_buffer
      - .actual_access:  read_only
        .address_space:  global
        .offset:         16
        .size:           8
        .value_kind:     global_buffer
      - .actual_access:  write_only
        .address_space:  global
        .offset:         24
        .size:           8
        .value_kind:     global_buffer
      - .offset:         32
        .size:           8
        .value_kind:     by_value
    .group_segment_fixed_size: 0
    .kernarg_segment_align: 8
    .kernarg_segment_size: 40
    .language:       OpenCL C
    .language_version:
      - 2
      - 0
    .max_flat_workgroup_size: 1024
    .name:           _ZN9rocsparseL19nnz_compress_kernelILi1024ELi32ELi32EdEEvi21rocsparse_index_base_PKT2_PKiPiS2_
    .private_segment_fixed_size: 0
    .sgpr_count:     18
    .sgpr_spill_count: 0
    .symbol:         _ZN9rocsparseL19nnz_compress_kernelILi1024ELi32ELi32EdEEvi21rocsparse_index_base_PKT2_PKiPiS2_.kd
    .uniform_work_group_size: 1
    .uses_dynamic_stack: false
    .vgpr_count:     10
    .vgpr_spill_count: 0
    .wavefront_size: 64
  - .agpr_count:     0
    .args:
      - .offset:         0
        .size:           4
        .value_kind:     by_value
      - .offset:         4
        .size:           4
        .value_kind:     by_value
      - .actual_access:  read_only
        .address_space:  global
        .offset:         8
        .size:           8
        .value_kind:     global_buffer
      - .actual_access:  read_only
        .address_space:  global
        .offset:         16
        .size:           8
        .value_kind:     global_buffer
      - .actual_access:  write_only
        .address_space:  global
        .offset:         24
        .size:           8
        .value_kind:     global_buffer
      - .offset:         32
        .size:           8
        .value_kind:     by_value
    .group_segment_fixed_size: 0
    .kernarg_segment_align: 8
    .kernarg_segment_size: 40
    .language:       OpenCL C
    .language_version:
      - 2
      - 0
    .max_flat_workgroup_size: 1024
    .name:           _ZN9rocsparseL19nnz_compress_kernelILi1024ELi16ELi64EdEEvi21rocsparse_index_base_PKT2_PKiPiS2_
    .private_segment_fixed_size: 0
    .sgpr_count:     18
    .sgpr_spill_count: 0
    .symbol:         _ZN9rocsparseL19nnz_compress_kernelILi1024ELi16ELi64EdEEvi21rocsparse_index_base_PKT2_PKiPiS2_.kd
    .uniform_work_group_size: 1
    .uses_dynamic_stack: false
    .vgpr_count:     10
    .vgpr_spill_count: 0
    .wavefront_size: 64
  - .agpr_count:     0
    .args:
      - .offset:         0
        .size:           4
        .value_kind:     by_value
      - .offset:         4
        .size:           4
        .value_kind:     by_value
      - .actual_access:  read_only
        .address_space:  global
        .offset:         8
        .size:           8
        .value_kind:     global_buffer
      - .actual_access:  read_only
        .address_space:  global
        .offset:         16
        .size:           8
        .value_kind:     global_buffer
      - .actual_access:  write_only
        .address_space:  global
        .offset:         24
        .size:           8
        .value_kind:     global_buffer
      - .offset:         32
        .size:           8
        .value_kind:     by_value
    .group_segment_fixed_size: 0
    .kernarg_segment_align: 8
    .kernarg_segment_size: 40
    .language:       OpenCL C
    .language_version:
      - 2
      - 0
    .max_flat_workgroup_size: 1024
    .name:           _ZN9rocsparseL19nnz_compress_kernelILi1024ELi512ELi2E21rocsparse_complex_numIfEEEvi21rocsparse_index_base_PKT2_PKiPiS4_
    .private_segment_fixed_size: 0
    .sgpr_count:     47
    .sgpr_spill_count: 0
    .symbol:         _ZN9rocsparseL19nnz_compress_kernelILi1024ELi512ELi2E21rocsparse_complex_numIfEEEvi21rocsparse_index_base_PKT2_PKiPiS4_.kd
    .uniform_work_group_size: 1
    .uses_dynamic_stack: false
    .vgpr_count:     37
    .vgpr_spill_count: 0
    .wavefront_size: 64
  - .agpr_count:     0
    .args:
      - .offset:         0
        .size:           4
        .value_kind:     by_value
      - .offset:         4
        .size:           4
        .value_kind:     by_value
      - .actual_access:  read_only
        .address_space:  global
        .offset:         8
        .size:           8
        .value_kind:     global_buffer
      - .actual_access:  read_only
        .address_space:  global
        .offset:         16
        .size:           8
        .value_kind:     global_buffer
      - .actual_access:  write_only
        .address_space:  global
        .offset:         24
        .size:           8
        .value_kind:     global_buffer
      - .offset:         32
        .size:           8
        .value_kind:     by_value
    .group_segment_fixed_size: 0
    .kernarg_segment_align: 8
    .kernarg_segment_size: 40
    .language:       OpenCL C
    .language_version:
      - 2
      - 0
    .max_flat_workgroup_size: 1024
    .name:           _ZN9rocsparseL19nnz_compress_kernelILi1024ELi256ELi4E21rocsparse_complex_numIfEEEvi21rocsparse_index_base_PKT2_PKiPiS4_
    .private_segment_fixed_size: 0
    .sgpr_count:     47
    .sgpr_spill_count: 0
    .symbol:         _ZN9rocsparseL19nnz_compress_kernelILi1024ELi256ELi4E21rocsparse_complex_numIfEEEvi21rocsparse_index_base_PKT2_PKiPiS4_.kd
    .uniform_work_group_size: 1
    .uses_dynamic_stack: false
    .vgpr_count:     37
    .vgpr_spill_count: 0
    .wavefront_size: 64
  - .agpr_count:     0
    .args:
      - .offset:         0
        .size:           4
        .value_kind:     by_value
      - .offset:         4
        .size:           4
        .value_kind:     by_value
      - .actual_access:  read_only
        .address_space:  global
        .offset:         8
        .size:           8
        .value_kind:     global_buffer
      - .actual_access:  read_only
        .address_space:  global
        .offset:         16
        .size:           8
        .value_kind:     global_buffer
      - .actual_access:  write_only
        .address_space:  global
        .offset:         24
        .size:           8
        .value_kind:     global_buffer
      - .offset:         32
        .size:           8
        .value_kind:     by_value
    .group_segment_fixed_size: 0
    .kernarg_segment_align: 8
    .kernarg_segment_size: 40
    .language:       OpenCL C
    .language_version:
      - 2
      - 0
    .max_flat_workgroup_size: 1024
    .name:           _ZN9rocsparseL19nnz_compress_kernelILi1024ELi128ELi8E21rocsparse_complex_numIfEEEvi21rocsparse_index_base_PKT2_PKiPiS4_
    .private_segment_fixed_size: 0
    .sgpr_count:     47
    .sgpr_spill_count: 0
    .symbol:         _ZN9rocsparseL19nnz_compress_kernelILi1024ELi128ELi8E21rocsparse_complex_numIfEEEvi21rocsparse_index_base_PKT2_PKiPiS4_.kd
    .uniform_work_group_size: 1
    .uses_dynamic_stack: false
    .vgpr_count:     37
    .vgpr_spill_count: 0
    .wavefront_size: 64
  - .agpr_count:     0
    .args:
      - .offset:         0
        .size:           4
        .value_kind:     by_value
      - .offset:         4
        .size:           4
        .value_kind:     by_value
      - .actual_access:  read_only
        .address_space:  global
        .offset:         8
        .size:           8
        .value_kind:     global_buffer
      - .actual_access:  read_only
        .address_space:  global
        .offset:         16
        .size:           8
        .value_kind:     global_buffer
      - .actual_access:  write_only
        .address_space:  global
        .offset:         24
        .size:           8
        .value_kind:     global_buffer
      - .offset:         32
        .size:           8
        .value_kind:     by_value
    .group_segment_fixed_size: 0
    .kernarg_segment_align: 8
    .kernarg_segment_size: 40
    .language:       OpenCL C
    .language_version:
      - 2
      - 0
    .max_flat_workgroup_size: 1024
    .name:           _ZN9rocsparseL19nnz_compress_kernelILi1024ELi64ELi16E21rocsparse_complex_numIfEEEvi21rocsparse_index_base_PKT2_PKiPiS4_
    .private_segment_fixed_size: 0
    .sgpr_count:     47
    .sgpr_spill_count: 0
    .symbol:         _ZN9rocsparseL19nnz_compress_kernelILi1024ELi64ELi16E21rocsparse_complex_numIfEEEvi21rocsparse_index_base_PKT2_PKiPiS4_.kd
    .uniform_work_group_size: 1
    .uses_dynamic_stack: false
    .vgpr_count:     37
    .vgpr_spill_count: 0
    .wavefront_size: 64
  - .agpr_count:     0
    .args:
      - .offset:         0
        .size:           4
        .value_kind:     by_value
      - .offset:         4
        .size:           4
        .value_kind:     by_value
      - .actual_access:  read_only
        .address_space:  global
        .offset:         8
        .size:           8
        .value_kind:     global_buffer
      - .actual_access:  read_only
        .address_space:  global
        .offset:         16
        .size:           8
        .value_kind:     global_buffer
      - .actual_access:  write_only
        .address_space:  global
        .offset:         24
        .size:           8
        .value_kind:     global_buffer
      - .offset:         32
        .size:           8
        .value_kind:     by_value
    .group_segment_fixed_size: 0
    .kernarg_segment_align: 8
    .kernarg_segment_size: 40
    .language:       OpenCL C
    .language_version:
      - 2
      - 0
    .max_flat_workgroup_size: 1024
    .name:           _ZN9rocsparseL19nnz_compress_kernelILi1024ELi32ELi32E21rocsparse_complex_numIfEEEvi21rocsparse_index_base_PKT2_PKiPiS4_
    .private_segment_fixed_size: 0
    .sgpr_count:     47
    .sgpr_spill_count: 0
    .symbol:         _ZN9rocsparseL19nnz_compress_kernelILi1024ELi32ELi32E21rocsparse_complex_numIfEEEvi21rocsparse_index_base_PKT2_PKiPiS4_.kd
    .uniform_work_group_size: 1
    .uses_dynamic_stack: false
    .vgpr_count:     37
    .vgpr_spill_count: 0
    .wavefront_size: 64
  - .agpr_count:     0
    .args:
      - .offset:         0
        .size:           4
        .value_kind:     by_value
      - .offset:         4
        .size:           4
        .value_kind:     by_value
      - .actual_access:  read_only
        .address_space:  global
        .offset:         8
        .size:           8
        .value_kind:     global_buffer
      - .actual_access:  read_only
        .address_space:  global
        .offset:         16
        .size:           8
        .value_kind:     global_buffer
      - .actual_access:  write_only
        .address_space:  global
        .offset:         24
        .size:           8
        .value_kind:     global_buffer
      - .offset:         32
        .size:           8
        .value_kind:     by_value
    .group_segment_fixed_size: 0
    .kernarg_segment_align: 8
    .kernarg_segment_size: 40
    .language:       OpenCL C
    .language_version:
      - 2
      - 0
    .max_flat_workgroup_size: 1024
    .name:           _ZN9rocsparseL19nnz_compress_kernelILi1024ELi16ELi64E21rocsparse_complex_numIfEEEvi21rocsparse_index_base_PKT2_PKiPiS4_
    .private_segment_fixed_size: 0
    .sgpr_count:     47
    .sgpr_spill_count: 0
    .symbol:         _ZN9rocsparseL19nnz_compress_kernelILi1024ELi16ELi64E21rocsparse_complex_numIfEEEvi21rocsparse_index_base_PKT2_PKiPiS4_.kd
    .uniform_work_group_size: 1
    .uses_dynamic_stack: false
    .vgpr_count:     37
    .vgpr_spill_count: 0
    .wavefront_size: 64
  - .agpr_count:     0
    .args:
      - .offset:         0
        .size:           4
        .value_kind:     by_value
      - .offset:         4
        .size:           4
        .value_kind:     by_value
      - .actual_access:  read_only
        .address_space:  global
        .offset:         8
        .size:           8
        .value_kind:     global_buffer
      - .actual_access:  read_only
        .address_space:  global
        .offset:         16
        .size:           8
        .value_kind:     global_buffer
      - .actual_access:  write_only
        .address_space:  global
        .offset:         24
        .size:           8
        .value_kind:     global_buffer
      - .offset:         32
        .size:           16
        .value_kind:     by_value
    .group_segment_fixed_size: 0
    .kernarg_segment_align: 8
    .kernarg_segment_size: 48
    .language:       OpenCL C
    .language_version:
      - 2
      - 0
    .max_flat_workgroup_size: 1024
    .name:           _ZN9rocsparseL19nnz_compress_kernelILi1024ELi512ELi2E21rocsparse_complex_numIdEEEvi21rocsparse_index_base_PKT2_PKiPiS4_
    .private_segment_fixed_size: 0
    .sgpr_count:     24
    .sgpr_spill_count: 0
    .symbol:         _ZN9rocsparseL19nnz_compress_kernelILi1024ELi512ELi2E21rocsparse_complex_numIdEEEvi21rocsparse_index_base_PKT2_PKiPiS4_.kd
    .uniform_work_group_size: 1
    .uses_dynamic_stack: false
    .vgpr_count:     26
    .vgpr_spill_count: 0
    .wavefront_size: 64
  - .agpr_count:     0
    .args:
      - .offset:         0
        .size:           4
        .value_kind:     by_value
      - .offset:         4
        .size:           4
        .value_kind:     by_value
      - .actual_access:  read_only
        .address_space:  global
        .offset:         8
        .size:           8
        .value_kind:     global_buffer
      - .actual_access:  read_only
        .address_space:  global
        .offset:         16
        .size:           8
        .value_kind:     global_buffer
      - .actual_access:  write_only
        .address_space:  global
        .offset:         24
        .size:           8
        .value_kind:     global_buffer
      - .offset:         32
        .size:           16
        .value_kind:     by_value
    .group_segment_fixed_size: 0
    .kernarg_segment_align: 8
    .kernarg_segment_size: 48
    .language:       OpenCL C
    .language_version:
      - 2
      - 0
    .max_flat_workgroup_size: 1024
    .name:           _ZN9rocsparseL19nnz_compress_kernelILi1024ELi256ELi4E21rocsparse_complex_numIdEEEvi21rocsparse_index_base_PKT2_PKiPiS4_
    .private_segment_fixed_size: 0
    .sgpr_count:     24
    .sgpr_spill_count: 0
    .symbol:         _ZN9rocsparseL19nnz_compress_kernelILi1024ELi256ELi4E21rocsparse_complex_numIdEEEvi21rocsparse_index_base_PKT2_PKiPiS4_.kd
    .uniform_work_group_size: 1
    .uses_dynamic_stack: false
    .vgpr_count:     26
    .vgpr_spill_count: 0
    .wavefront_size: 64
  - .agpr_count:     0
    .args:
      - .offset:         0
        .size:           4
        .value_kind:     by_value
      - .offset:         4
        .size:           4
        .value_kind:     by_value
      - .actual_access:  read_only
        .address_space:  global
        .offset:         8
        .size:           8
        .value_kind:     global_buffer
      - .actual_access:  read_only
        .address_space:  global
        .offset:         16
        .size:           8
        .value_kind:     global_buffer
      - .actual_access:  write_only
        .address_space:  global
        .offset:         24
        .size:           8
        .value_kind:     global_buffer
      - .offset:         32
        .size:           16
        .value_kind:     by_value
    .group_segment_fixed_size: 0
    .kernarg_segment_align: 8
    .kernarg_segment_size: 48
    .language:       OpenCL C
    .language_version:
      - 2
      - 0
    .max_flat_workgroup_size: 1024
    .name:           _ZN9rocsparseL19nnz_compress_kernelILi1024ELi128ELi8E21rocsparse_complex_numIdEEEvi21rocsparse_index_base_PKT2_PKiPiS4_
    .private_segment_fixed_size: 0
    .sgpr_count:     24
    .sgpr_spill_count: 0
    .symbol:         _ZN9rocsparseL19nnz_compress_kernelILi1024ELi128ELi8E21rocsparse_complex_numIdEEEvi21rocsparse_index_base_PKT2_PKiPiS4_.kd
    .uniform_work_group_size: 1
    .uses_dynamic_stack: false
    .vgpr_count:     26
    .vgpr_spill_count: 0
    .wavefront_size: 64
  - .agpr_count:     0
    .args:
      - .offset:         0
        .size:           4
        .value_kind:     by_value
      - .offset:         4
        .size:           4
        .value_kind:     by_value
      - .actual_access:  read_only
        .address_space:  global
        .offset:         8
        .size:           8
        .value_kind:     global_buffer
      - .actual_access:  read_only
        .address_space:  global
        .offset:         16
        .size:           8
        .value_kind:     global_buffer
      - .actual_access:  write_only
        .address_space:  global
        .offset:         24
        .size:           8
        .value_kind:     global_buffer
      - .offset:         32
        .size:           16
        .value_kind:     by_value
    .group_segment_fixed_size: 0
    .kernarg_segment_align: 8
    .kernarg_segment_size: 48
    .language:       OpenCL C
    .language_version:
      - 2
      - 0
    .max_flat_workgroup_size: 1024
    .name:           _ZN9rocsparseL19nnz_compress_kernelILi1024ELi64ELi16E21rocsparse_complex_numIdEEEvi21rocsparse_index_base_PKT2_PKiPiS4_
    .private_segment_fixed_size: 0
    .sgpr_count:     24
    .sgpr_spill_count: 0
    .symbol:         _ZN9rocsparseL19nnz_compress_kernelILi1024ELi64ELi16E21rocsparse_complex_numIdEEEvi21rocsparse_index_base_PKT2_PKiPiS4_.kd
    .uniform_work_group_size: 1
    .uses_dynamic_stack: false
    .vgpr_count:     26
    .vgpr_spill_count: 0
    .wavefront_size: 64
  - .agpr_count:     0
    .args:
      - .offset:         0
        .size:           4
        .value_kind:     by_value
      - .offset:         4
        .size:           4
        .value_kind:     by_value
      - .actual_access:  read_only
        .address_space:  global
        .offset:         8
        .size:           8
        .value_kind:     global_buffer
      - .actual_access:  read_only
        .address_space:  global
        .offset:         16
        .size:           8
        .value_kind:     global_buffer
      - .actual_access:  write_only
        .address_space:  global
        .offset:         24
        .size:           8
        .value_kind:     global_buffer
      - .offset:         32
        .size:           16
        .value_kind:     by_value
    .group_segment_fixed_size: 0
    .kernarg_segment_align: 8
    .kernarg_segment_size: 48
    .language:       OpenCL C
    .language_version:
      - 2
      - 0
    .max_flat_workgroup_size: 1024
    .name:           _ZN9rocsparseL19nnz_compress_kernelILi1024ELi32ELi32E21rocsparse_complex_numIdEEEvi21rocsparse_index_base_PKT2_PKiPiS4_
    .private_segment_fixed_size: 0
    .sgpr_count:     24
    .sgpr_spill_count: 0
    .symbol:         _ZN9rocsparseL19nnz_compress_kernelILi1024ELi32ELi32E21rocsparse_complex_numIdEEEvi21rocsparse_index_base_PKT2_PKiPiS4_.kd
    .uniform_work_group_size: 1
    .uses_dynamic_stack: false
    .vgpr_count:     26
    .vgpr_spill_count: 0
    .wavefront_size: 64
  - .agpr_count:     0
    .args:
      - .offset:         0
        .size:           4
        .value_kind:     by_value
      - .offset:         4
        .size:           4
        .value_kind:     by_value
      - .actual_access:  read_only
        .address_space:  global
        .offset:         8
        .size:           8
        .value_kind:     global_buffer
      - .actual_access:  read_only
        .address_space:  global
        .offset:         16
        .size:           8
        .value_kind:     global_buffer
      - .actual_access:  write_only
        .address_space:  global
        .offset:         24
        .size:           8
        .value_kind:     global_buffer
      - .offset:         32
        .size:           16
        .value_kind:     by_value
    .group_segment_fixed_size: 0
    .kernarg_segment_align: 8
    .kernarg_segment_size: 48
    .language:       OpenCL C
    .language_version:
      - 2
      - 0
    .max_flat_workgroup_size: 1024
    .name:           _ZN9rocsparseL19nnz_compress_kernelILi1024ELi16ELi64E21rocsparse_complex_numIdEEEvi21rocsparse_index_base_PKT2_PKiPiS4_
    .private_segment_fixed_size: 0
    .sgpr_count:     24
    .sgpr_spill_count: 0
    .symbol:         _ZN9rocsparseL19nnz_compress_kernelILi1024ELi16ELi64E21rocsparse_complex_numIdEEEvi21rocsparse_index_base_PKT2_PKiPiS4_.kd
    .uniform_work_group_size: 1
    .uses_dynamic_stack: false
    .vgpr_count:     26
    .vgpr_spill_count: 0
    .wavefront_size: 64
amdhsa.target:   amdgcn-amd-amdhsa--gfx90a
amdhsa.version:
  - 1
  - 2
...

	.end_amdgpu_metadata
